;; amdgpu-corpus repo=ROCm/rocFFT kind=compiled arch=gfx906 opt=O3
	.text
	.amdgcn_target "amdgcn-amd-amdhsa--gfx906"
	.amdhsa_code_object_version 6
	.protected	bluestein_single_fwd_len1904_dim1_half_op_CI_CI ; -- Begin function bluestein_single_fwd_len1904_dim1_half_op_CI_CI
	.globl	bluestein_single_fwd_len1904_dim1_half_op_CI_CI
	.p2align	8
	.type	bluestein_single_fwd_len1904_dim1_half_op_CI_CI,@function
bluestein_single_fwd_len1904_dim1_half_op_CI_CI: ; @bluestein_single_fwd_len1904_dim1_half_op_CI_CI
; %bb.0:
	s_mov_b64 s[38:39], s[2:3]
	s_mov_b64 s[36:37], s[0:1]
	s_load_dwordx4 s[0:3], s[4:5], 0x28
	v_mul_u32_u24_e32 v1, 0x227, v0
	v_add_u32_sdwa v148, s6, v1 dst_sel:DWORD dst_unused:UNUSED_PAD src0_sel:DWORD src1_sel:WORD_1
	v_mov_b32_e32 v149, 0
	s_add_u32 s36, s36, s7
	s_waitcnt lgkmcnt(0)
	v_cmp_gt_u64_e32 vcc, s[0:1], v[148:149]
	s_addc_u32 s37, s37, 0
	s_and_saveexec_b64 s[0:1], vcc
	s_cbranch_execz .LBB0_23
; %bb.1:
	s_load_dwordx2 s[6:7], s[4:5], 0x0
	s_load_dwordx2 s[12:13], s[4:5], 0x38
	s_movk_i32 s0, 0x77
	v_mul_lo_u16_sdwa v1, v1, s0 dst_sel:DWORD dst_unused:UNUSED_PAD src0_sel:WORD_1 src1_sel:DWORD
	v_sub_u16_e32 v47, v0, v1
	s_movk_i32 s0, 0x70
	v_cmp_gt_u16_e32 vcc, s0, v47
	v_lshlrev_b32_e32 v48, 2, v47
	s_and_saveexec_b64 s[14:15], vcc
	s_cbranch_execz .LBB0_3
; %bb.2:
	s_load_dwordx2 s[0:1], s[4:5], 0x18
	v_or_b32_e32 v20, 0x380, v47
	v_add_u32_e32 v16, 0x200, v48
	s_waitcnt lgkmcnt(0)
	s_load_dwordx4 s[8:11], s[0:1], 0x0
	s_waitcnt lgkmcnt(0)
	v_mad_u64_u32 v[0:1], s[0:1], s10, v148, 0
	v_mad_u64_u32 v[2:3], s[0:1], s8, v47, 0
	;; [unrolled: 1-line block ×4, first 2 shown]
	v_mov_b32_e32 v1, v4
	v_lshlrev_b64 v[0:1], 2, v[0:1]
	v_mov_b32_e32 v3, v5
	v_mov_b32_e32 v6, s3
	v_lshlrev_b64 v[2:3], 2, v[2:3]
	v_add_co_u32_e64 v7, s[0:1], s2, v0
	v_addc_co_u32_e64 v8, s[0:1], v6, v1, s[0:1]
	v_add_co_u32_e64 v0, s[0:1], v7, v2
	v_addc_co_u32_e64 v1, s[0:1], v8, v3, s[0:1]
	s_mul_i32 s0, s9, 0x1c0
	s_mul_hi_u32 s3, s8, 0x1c0
	s_add_i32 s3, s3, s0
	s_mul_i32 s2, s8, 0x1c0
	v_mov_b32_e32 v3, s3
	v_add_co_u32_e64 v2, s[0:1], s2, v0
	v_addc_co_u32_e64 v3, s[0:1], v1, v3, s[0:1]
	global_load_dword v4, v[0:1], off
	global_load_dword v5, v[2:3], off
	global_load_dword v6, v48, s[6:7]
	global_load_dword v9, v48, s[6:7] offset:448
	v_mov_b32_e32 v1, s3
	v_add_co_u32_e64 v0, s[0:1], s2, v2
	v_addc_co_u32_e64 v1, s[0:1], v3, v1, s[0:1]
	global_load_dword v10, v[0:1], off
	global_load_dword v11, v48, s[6:7] offset:896
	v_mov_b32_e32 v2, s3
	v_add_co_u32_e64 v0, s[0:1], s2, v0
	v_addc_co_u32_e64 v1, s[0:1], v1, v2, s[0:1]
	global_load_dword v12, v[0:1], off
	global_load_dword v13, v48, s[6:7] offset:1344
	v_add_co_u32_e64 v0, s[0:1], s2, v0
	v_addc_co_u32_e64 v1, s[0:1], v1, v2, s[0:1]
	global_load_dword v14, v[0:1], off
	global_load_dword v15, v48, s[6:7] offset:1792
	v_mov_b32_e32 v2, s7
	v_add_co_u32_e64 v21, s[0:1], s6, v48
	v_addc_co_u32_e64 v22, s[0:1], 0, v2, s[0:1]
	v_mad_u64_u32 v[2:3], s[0:1], s8, v20, 0
	v_mov_b32_e32 v23, s3
	v_add_co_u32_e64 v0, s[0:1], s2, v0
	v_addc_co_u32_e64 v1, s[0:1], v1, v23, s[0:1]
	global_load_dword v17, v48, s[6:7] offset:2240
	global_load_dword v18, v48, s[6:7] offset:2688
	;; [unrolled: 1-line block ×3, first 2 shown]
	global_load_dword v23, v[0:1], off
	v_mov_b32_e32 v25, s3
	v_add_co_u32_e64 v0, s[0:1], s2, v0
	v_addc_co_u32_e64 v1, s[0:1], v1, v25, s[0:1]
	v_mov_b32_e32 v32, s3
	s_waitcnt vmcnt(13)
	v_lshrrev_b32_e32 v26, 16, v4
	s_waitcnt vmcnt(11)
	v_mul_f16_sdwa v27, v6, v4 dst_sel:DWORD dst_unused:UNUSED_PAD src0_sel:WORD_1 src1_sel:DWORD
	v_mul_f16_sdwa v28, v6, v26 dst_sel:DWORD dst_unused:UNUSED_PAD src0_sel:WORD_1 src1_sel:DWORD
	v_fma_f16 v26, v6, v26, -v27
	v_lshrrev_b32_e32 v27, 16, v5
	s_waitcnt vmcnt(10)
	v_mul_f16_sdwa v29, v9, v5 dst_sel:DWORD dst_unused:UNUSED_PAD src0_sel:WORD_1 src1_sel:DWORD
	v_fma_f16 v4, v6, v4, v28
	v_mul_f16_sdwa v6, v9, v27 dst_sel:DWORD dst_unused:UNUSED_PAD src0_sel:WORD_1 src1_sel:DWORD
	s_waitcnt vmcnt(9)
	v_lshrrev_b32_e32 v28, 16, v10
	v_fma_f16 v27, v9, v27, -v29
	s_waitcnt vmcnt(8)
	v_mul_f16_sdwa v29, v11, v10 dst_sel:DWORD dst_unused:UNUSED_PAD src0_sel:WORD_1 src1_sel:DWORD
	v_pack_b32_f16 v4, v4, v26
	v_fma_f16 v5, v9, v5, v6
	v_mul_f16_sdwa v6, v11, v28 dst_sel:DWORD dst_unused:UNUSED_PAD src0_sel:WORD_1 src1_sel:DWORD
	s_waitcnt vmcnt(7)
	v_lshrrev_b32_e32 v26, 16, v12
	v_fma_f16 v9, v11, v28, -v29
	s_waitcnt vmcnt(6)
	v_mul_f16_sdwa v28, v13, v12 dst_sel:DWORD dst_unused:UNUSED_PAD src0_sel:WORD_1 src1_sel:DWORD
	v_pack_b32_f16 v5, v5, v27
	v_fma_f16 v6, v11, v10, v6
	v_mul_f16_sdwa v10, v13, v26 dst_sel:DWORD dst_unused:UNUSED_PAD src0_sel:WORD_1 src1_sel:DWORD
	v_fma_f16 v11, v13, v26, -v28
	ds_write2_b32 v48, v4, v5 offset1:112
	v_fma_f16 v5, v13, v12, v10
	v_pack_b32_f16 v4, v6, v9
	v_pack_b32_f16 v5, v5, v11
	ds_write2_b32 v16, v4, v5 offset0:96 offset1:208
	v_mad_u64_u32 v[3:4], s[0:1], s9, v20, v[3:4]
	global_load_dword v10, v[0:1], off
	v_mov_b32_e32 v5, s3
	v_add_co_u32_e64 v0, s[0:1], s2, v0
	v_addc_co_u32_e64 v1, s[0:1], v1, v5, s[0:1]
	global_load_dword v11, v[0:1], off
	v_lshlrev_b64 v[2:3], 2, v[2:3]
	v_mov_b32_e32 v4, 0x380
	v_mad_u64_u32 v[0:1], s[0:1], s8, v4, v[0:1]
	v_add_co_u32_e64 v2, s[0:1], v7, v2
	v_addc_co_u32_e64 v3, s[0:1], v8, v3, s[0:1]
	s_waitcnt vmcnt(7)
	v_lshrrev_b32_e32 v26, 16, v14
	global_load_dword v12, v[2:3], off
	s_mul_i32 s0, s9, 0x380
	s_waitcnt vmcnt(7)
	v_mul_f16_sdwa v27, v15, v14 dst_sel:DWORD dst_unused:UNUSED_PAD src0_sel:WORD_1 src1_sel:DWORD
	v_mul_f16_sdwa v6, v15, v26 dst_sel:DWORD dst_unused:UNUSED_PAD src0_sel:WORD_1 src1_sel:DWORD
	v_add_u32_e32 v1, s0, v1
	v_fma_f16 v9, v15, v26, -v27
	v_fma_f16 v6, v15, v14, v6
	global_load_dword v13, v[0:1], off
	global_load_dword v14, v48, s[6:7] offset:3584
	global_load_dword v15, v48, s[6:7] offset:4032
	v_mov_b32_e32 v2, s3
	v_add_co_u32_e64 v0, s[0:1], s2, v0
	v_addc_co_u32_e64 v1, s[0:1], v1, v2, s[0:1]
	s_movk_i32 s0, 0x1000
	v_add_co_u32_e64 v2, s[0:1], s0, v21
	global_load_dword v16, v[0:1], off
	v_addc_co_u32_e64 v3, s[0:1], 0, v22, s[0:1]
	global_load_dword v20, v[2:3], off offset:384
	v_mov_b32_e32 v4, s3
	v_add_co_u32_e64 v0, s[0:1], s2, v0
	v_addc_co_u32_e64 v1, s[0:1], v1, v4, s[0:1]
	global_load_dword v21, v[0:1], off
	v_add_co_u32_e64 v0, s[0:1], s2, v0
	v_addc_co_u32_e64 v1, s[0:1], v1, v4, s[0:1]
	global_load_dword v22, v[0:1], off
	global_load_dword v25, v[2:3], off offset:832
	global_load_dword v26, v[2:3], off offset:1280
	v_add_co_u32_e64 v0, s[0:1], s2, v0
	v_addc_co_u32_e64 v1, s[0:1], v1, v4, s[0:1]
	global_load_dword v27, v[0:1], off
	v_add_co_u32_e64 v0, s[0:1], s2, v0
	v_or_b32_e32 v28, 0x700, v47
	v_addc_co_u32_e64 v1, s[0:1], v1, v4, s[0:1]
	v_mad_u64_u32 v[4:5], s[0:1], s8, v28, 0
	global_load_dword v29, v[2:3], off offset:1728
	v_pack_b32_f16 v9, v6, v9
	v_mad_u64_u32 v[5:6], s[0:1], s9, v28, v[5:6]
	global_load_dword v30, v[0:1], off
	global_load_dword v31, v[2:3], off offset:2176
	v_add_co_u32_e64 v0, s[0:1], s2, v0
	v_addc_co_u32_e64 v1, s[0:1], v1, v32, s[0:1]
	global_load_dword v6, v[0:1], off
	global_load_dword v32, v[2:3], off offset:2624
	v_lshlrev_b64 v[0:1], 2, v[4:5]
	s_waitcnt vmcnt(18)
	v_lshrrev_b32_e32 v2, 16, v23
	v_add_co_u32_e64 v0, s[0:1], v7, v0
	v_addc_co_u32_e64 v1, s[0:1], v8, v1, s[0:1]
	global_load_dword v0, v[0:1], off
	v_lshlrev_b32_e32 v1, 2, v28
	global_load_dword v1, v1, s[6:7]
	v_mul_f16_sdwa v3, v17, v2 dst_sel:DWORD dst_unused:UNUSED_PAD src0_sel:WORD_1 src1_sel:DWORD
	v_mul_f16_sdwa v4, v17, v23 dst_sel:DWORD dst_unused:UNUSED_PAD src0_sel:WORD_1 src1_sel:DWORD
	v_fma_f16 v3, v17, v23, v3
	v_fma_f16 v2, v17, v2, -v4
	v_pack_b32_f16 v2, v3, v2
	v_add_u32_e32 v3, 0x600, v48
	ds_write2_b32 v3, v9, v2 offset0:64 offset1:176
	s_waitcnt vmcnt(19)
	v_lshrrev_b32_e32 v2, 16, v10
	v_mul_f16_sdwa v3, v18, v2 dst_sel:DWORD dst_unused:UNUSED_PAD src0_sel:WORD_1 src1_sel:DWORD
	v_mul_f16_sdwa v4, v18, v10 dst_sel:DWORD dst_unused:UNUSED_PAD src0_sel:WORD_1 src1_sel:DWORD
	v_fma_f16 v3, v18, v10, v3
	v_fma_f16 v2, v18, v2, -v4
	v_pack_b32_f16 v2, v3, v2
	s_waitcnt vmcnt(18)
	v_lshrrev_b32_e32 v3, 16, v11
	v_mul_f16_sdwa v4, v19, v3 dst_sel:DWORD dst_unused:UNUSED_PAD src0_sel:WORD_1 src1_sel:DWORD
	v_mul_f16_sdwa v5, v19, v11 dst_sel:DWORD dst_unused:UNUSED_PAD src0_sel:WORD_1 src1_sel:DWORD
	v_fma_f16 v4, v19, v11, v4
	v_fma_f16 v3, v19, v3, -v5
	v_pack_b32_f16 v3, v4, v3
	v_add_u32_e32 v4, 0xa00, v48
	ds_write2_b32 v4, v2, v3 offset0:32 offset1:144
	s_waitcnt vmcnt(17)
	v_lshrrev_b32_e32 v2, 16, v12
	s_waitcnt vmcnt(15)
	v_mul_f16_sdwa v3, v14, v2 dst_sel:DWORD dst_unused:UNUSED_PAD src0_sel:WORD_1 src1_sel:DWORD
	v_mul_f16_sdwa v4, v14, v12 dst_sel:DWORD dst_unused:UNUSED_PAD src0_sel:WORD_1 src1_sel:DWORD
	v_fma_f16 v3, v14, v12, v3
	v_fma_f16 v2, v14, v2, -v4
	v_pack_b32_f16 v2, v3, v2
	v_lshrrev_b32_e32 v3, 16, v13
	s_waitcnt vmcnt(14)
	v_mul_f16_sdwa v4, v15, v3 dst_sel:DWORD dst_unused:UNUSED_PAD src0_sel:WORD_1 src1_sel:DWORD
	v_mul_f16_sdwa v5, v15, v13 dst_sel:DWORD dst_unused:UNUSED_PAD src0_sel:WORD_1 src1_sel:DWORD
	v_fma_f16 v4, v15, v13, v4
	v_fma_f16 v3, v15, v3, -v5
	v_pack_b32_f16 v3, v4, v3
	v_add_u32_e32 v4, 0xc00, v48
	ds_write2_b32 v4, v2, v3 offset0:128 offset1:240
	s_waitcnt vmcnt(13)
	v_lshrrev_b32_e32 v2, 16, v16
	s_waitcnt vmcnt(12)
	v_mul_f16_sdwa v3, v20, v2 dst_sel:DWORD dst_unused:UNUSED_PAD src0_sel:WORD_1 src1_sel:DWORD
	v_mul_f16_sdwa v4, v20, v16 dst_sel:DWORD dst_unused:UNUSED_PAD src0_sel:WORD_1 src1_sel:DWORD
	v_fma_f16 v3, v20, v16, v3
	v_fma_f16 v2, v20, v2, -v4
	v_pack_b32_f16 v2, v3, v2
	s_waitcnt vmcnt(11)
	v_lshrrev_b32_e32 v3, 16, v21
	s_waitcnt vmcnt(9)
	v_mul_f16_sdwa v4, v25, v3 dst_sel:DWORD dst_unused:UNUSED_PAD src0_sel:WORD_1 src1_sel:DWORD
	v_mul_f16_sdwa v5, v25, v21 dst_sel:DWORD dst_unused:UNUSED_PAD src0_sel:WORD_1 src1_sel:DWORD
	v_fma_f16 v4, v25, v21, v4
	v_fma_f16 v3, v25, v3, -v5
	v_pack_b32_f16 v3, v4, v3
	v_add_u32_e32 v4, 0x1000, v48
	ds_write2_b32 v4, v2, v3 offset0:96 offset1:208
	v_lshrrev_b32_e32 v2, 16, v22
	s_waitcnt vmcnt(8)
	v_mul_f16_sdwa v3, v26, v2 dst_sel:DWORD dst_unused:UNUSED_PAD src0_sel:WORD_1 src1_sel:DWORD
	v_mul_f16_sdwa v4, v26, v22 dst_sel:DWORD dst_unused:UNUSED_PAD src0_sel:WORD_1 src1_sel:DWORD
	v_fma_f16 v3, v26, v22, v3
	v_fma_f16 v2, v26, v2, -v4
	v_pack_b32_f16 v2, v3, v2
	s_waitcnt vmcnt(7)
	v_lshrrev_b32_e32 v3, 16, v27
	s_waitcnt vmcnt(6)
	v_mul_f16_sdwa v4, v29, v3 dst_sel:DWORD dst_unused:UNUSED_PAD src0_sel:WORD_1 src1_sel:DWORD
	v_mul_f16_sdwa v5, v29, v27 dst_sel:DWORD dst_unused:UNUSED_PAD src0_sel:WORD_1 src1_sel:DWORD
	v_fma_f16 v4, v29, v27, v4
	v_fma_f16 v3, v29, v3, -v5
	v_pack_b32_f16 v3, v4, v3
	v_add_u32_e32 v4, 0x1400, v48
	ds_write2_b32 v4, v2, v3 offset0:64 offset1:176
	s_waitcnt vmcnt(5)
	v_lshrrev_b32_e32 v2, 16, v30
	s_waitcnt vmcnt(4)
	v_mul_f16_sdwa v3, v31, v2 dst_sel:DWORD dst_unused:UNUSED_PAD src0_sel:WORD_1 src1_sel:DWORD
	v_mul_f16_sdwa v4, v31, v30 dst_sel:DWORD dst_unused:UNUSED_PAD src0_sel:WORD_1 src1_sel:DWORD
	v_fma_f16 v3, v31, v30, v3
	v_fma_f16 v2, v31, v2, -v4
	v_pack_b32_f16 v2, v3, v2
	s_waitcnt vmcnt(3)
	v_lshrrev_b32_e32 v3, 16, v6
	s_waitcnt vmcnt(2)
	v_mul_f16_sdwa v4, v32, v3 dst_sel:DWORD dst_unused:UNUSED_PAD src0_sel:WORD_1 src1_sel:DWORD
	v_mul_f16_sdwa v5, v32, v6 dst_sel:DWORD dst_unused:UNUSED_PAD src0_sel:WORD_1 src1_sel:DWORD
	v_fma_f16 v4, v32, v6, v4
	v_fma_f16 v3, v32, v3, -v5
	v_pack_b32_f16 v3, v4, v3
	v_add_u32_e32 v4, 0x1800, v48
	ds_write2_b32 v4, v2, v3 offset0:32 offset1:144
	s_waitcnt vmcnt(1)
	v_lshrrev_b32_e32 v2, 16, v0
	s_waitcnt vmcnt(0)
	v_mul_f16_sdwa v3, v1, v2 dst_sel:DWORD dst_unused:UNUSED_PAD src0_sel:WORD_1 src1_sel:DWORD
	v_fma_f16 v3, v1, v0, v3
	v_mul_f16_sdwa v0, v1, v0 dst_sel:DWORD dst_unused:UNUSED_PAD src0_sel:WORD_1 src1_sel:DWORD
	v_fma_f16 v0, v1, v2, -v0
	v_pack_b32_f16 v0, v3, v0
	ds_write_b32 v48, v0 offset:7168
.LBB0_3:
	s_or_b64 exec, exec, s[14:15]
	s_load_dwordx2 s[0:1], s[4:5], 0x20
	s_load_dwordx2 s[14:15], s[4:5], 0x8
	v_mov_b32_e32 v0, 0
	s_waitcnt lgkmcnt(0)
	s_barrier
	s_waitcnt lgkmcnt(0)
                                        ; implicit-def: $vgpr41
                                        ; implicit-def: $vgpr11
                                        ; implicit-def: $vgpr9
                                        ; implicit-def: $vgpr7
                                        ; implicit-def: $vgpr5
                                        ; implicit-def: $vgpr3
                                        ; implicit-def: $vgpr13
                                        ; implicit-def: $vgpr15
                                        ; implicit-def: $vgpr44
	s_and_saveexec_b64 s[2:3], vcc
	s_cbranch_execz .LBB0_5
; %bb.4:
	v_add_u32_e32 v2, 0x200, v48
	ds_read2_b32 v[14:15], v2 offset0:96 offset1:208
	v_add_u32_e32 v2, 0x600, v48
	ds_read2_b32 v[12:13], v2 offset0:64 offset1:176
	v_add_u32_e32 v2, 0xa00, v48
	v_add_u32_e32 v4, 0xc00, v48
	;; [unrolled: 1-line block ×5, first 2 shown]
	ds_read2_b32 v[0:1], v48 offset1:112
	ds_read2_b32 v[2:3], v2 offset0:32 offset1:144
	ds_read2_b32 v[4:5], v4 offset0:128 offset1:240
	ds_read2_b32 v[6:7], v6 offset0:96 offset1:208
	ds_read2_b32 v[8:9], v8 offset0:64 offset1:176
	ds_read2_b32 v[10:11], v10 offset0:32 offset1:144
	ds_read_b32 v41, v48 offset:7168
	s_waitcnt lgkmcnt(8)
	v_alignbit_b32 v44, v14, v14, 16
.LBB0_5:
	s_or_b64 exec, exec, s[2:3]
	s_waitcnt lgkmcnt(0)
	v_pk_add_f16 v14, v1, v41 neg_lo:[0,1] neg_hi:[0,1]
	s_mov_b32 s22, 0xb5c8
	v_pk_add_f16 v18, v41, v1
	s_movk_i32 s4, 0x3b76
	v_mul_f16_sdwa v60, v14, s22 dst_sel:DWORD dst_unused:UNUSED_PAD src0_sel:WORD_1 src1_sel:DWORD
	v_lshrrev_b32_e32 v59, 16, v18
	v_mul_f16_e32 v61, 0xb5c8, v14
	v_fma_f16 v16, v18, s4, v60
	v_add_f16_e32 v17, v16, v0
	v_fma_f16 v16, v59, s4, -v61
	v_add_f16_sdwa v19, v16, v0 dst_sel:DWORD dst_unused:UNUSED_PAD src0_sel:DWORD src1_sel:WORD_1
	v_pk_add_f16 v16, v11, v44 op_sel:[1,0] op_sel_hi:[0,1]
	v_pk_add_f16 v20, v44, v11 op_sel:[1,0] op_sel_hi:[0,1] neg_lo:[0,1] neg_hi:[0,1]
	s_mov_b32 s25, 0xb964
	v_lshrrev_b32_e32 v32, 16, v16
	s_movk_i32 s5, 0x39e9
	v_mul_f16_sdwa v42, v20, s25 dst_sel:DWORD dst_unused:UNUSED_PAD src0_sel:WORD_1 src1_sel:DWORD
	v_mul_f16_e32 v46, 0xb964, v20
	v_fma_f16 v21, v32, s5, v42
	v_add_f16_e32 v21, v21, v17
	v_fma_f16 v17, v16, s5, -v46
	v_add_f16_e32 v19, v17, v19
	v_pk_add_f16 v17, v15, v10 neg_lo:[0,1] neg_hi:[0,1]
	s_mov_b32 s24, 0xbb29
	v_pk_add_f16 v22, v10, v15
	s_movk_i32 s8, 0x3722
	v_mul_f16_sdwa v43, v17, s24 dst_sel:DWORD dst_unused:UNUSED_PAD src0_sel:WORD_1 src1_sel:DWORD
	v_lshrrev_b32_e32 v37, 16, v22
	v_mul_f16_e32 v50, 0xbb29, v17
	v_fma_f16 v23, v22, s8, v43
	v_add_f16_e32 v21, v23, v21
	v_fma_f16 v23, v37, s8, -v50
	v_add_f16_e32 v23, v23, v19
	v_pk_add_f16 v19, v12, v9 neg_lo:[0,1] neg_hi:[0,1]
	s_mov_b32 s23, 0xbbf7
	v_pk_add_f16 v25, v9, v12
	s_movk_i32 s10, 0x2de8
	v_mul_f16_sdwa v45, v19, s23 dst_sel:DWORD dst_unused:UNUSED_PAD src0_sel:WORD_1 src1_sel:DWORD
	v_lshrrev_b32_e32 v38, 16, v25
	v_mul_f16_e32 v52, 0xbbf7, v19
	v_fma_f16 v26, v25, s10, v45
	v_add_f16_e32 v26, v26, v21
	v_fma_f16 v21, v38, s10, -v52
	v_add_f16_e32 v23, v21, v23
	v_pk_add_f16 v21, v13, v8 neg_lo:[0,1] neg_hi:[0,1]
	s_mov_b32 s9, 0xbbb2
	v_pk_add_f16 v27, v8, v13
	s_mov_b32 s16, 0xb461
	v_mul_f16_sdwa v49, v21, s9 dst_sel:DWORD dst_unused:UNUSED_PAD src0_sel:WORD_1 src1_sel:DWORD
	v_lshrrev_b32_e32 v39, 16, v27
	v_mul_f16_e32 v54, 0xbbb2, v21
	v_fma_f16 v28, v27, s16, v49
	v_add_f16_e32 v26, v28, v26
	v_fma_f16 v28, v39, s16, -v54
	v_add_f16_e32 v29, v28, v23
	v_pk_add_f16 v23, v2, v7 neg_lo:[0,1] neg_hi:[0,1]
	s_mov_b32 s11, 0xba62
	v_pk_add_f16 v28, v7, v2
	s_mov_b32 s18, 0xb8d2
	;; [unrolled: 11-line block ×4, first 2 shown]
	v_mul_f16_sdwa v55, v29, s19 dst_sel:DWORD dst_unused:UNUSED_PAD src0_sel:WORD_1 src1_sel:DWORD
	v_fma_f16 v58, v31, s21, v55
	v_lshrrev_b32_e32 v36, 16, v31
	v_add_f16_e32 v33, v58, v33
	v_mul_f16_e32 v58, 0xb1e1, v29
	v_fma_f16 v62, v36, s21, -v58
	v_add_f16_e32 v34, v62, v34
	s_barrier
	s_and_saveexec_b64 s[2:3], vcc
	s_cbranch_execz .LBB0_7
; %bb.6:
	v_mul_f16_e32 v62, 0x3b76, v59
	v_add_f16_e32 v61, v61, v62
	v_mul_f16_e32 v62, 0x3b76, v18
	v_sub_f16_e32 v60, v62, v60
	v_mul_f16_sdwa v62, v14, s25 dst_sel:DWORD dst_unused:UNUSED_PAD src0_sel:WORD_1 src1_sel:DWORD
	s_movk_i32 s31, 0x3836
	s_movk_i32 s28, 0x3bb2
	;; [unrolled: 1-line block ×3, first 2 shown]
	v_mul_f16_e32 v64, 0x3722, v59
	s_movk_i32 s30, 0x3a62
	s_movk_i32 s27, 0x3bf7
	v_mul_f16_e32 v66, 0x2de8, v59
	v_mul_f16_sdwa v68, v14, s23 dst_sel:DWORD dst_unused:UNUSED_PAD src0_sel:WORD_1 src1_sel:DWORD
	v_mul_f16_e32 v70, 0xb461, v59
	v_mul_f16_sdwa v72, v14, s9 dst_sel:DWORD dst_unused:UNUSED_PAD src0_sel:WORD_1 src1_sel:DWORD
	;; [unrolled: 2-line block ×4, first 2 shown]
	v_fma_f16 v63, v18, s5, v62
	v_fma_f16 v65, v14, s26, v64
	;; [unrolled: 1-line block ×11, first 2 shown]
	v_fma_f16 v79, v18, s20, -v79
	v_fma_f16 v74, v14, s11, v74
	v_fma_f16 v76, v18, s18, -v76
	v_fma_f16 v70, v14, s9, v70
	;; [unrolled: 2-line block ×4, first 2 shown]
	v_fma_f16 v62, v18, s5, -v62
	v_add_f16_e32 v63, v63, v0
	v_add_f16_sdwa v65, v65, v0 dst_sel:DWORD dst_unused:UNUSED_PAD src0_sel:DWORD src1_sel:WORD_1
	v_add_f16_sdwa v67, v67, v0 dst_sel:DWORD dst_unused:UNUSED_PAD src0_sel:DWORD src1_sel:WORD_1
	v_add_f16_e32 v69, v69, v0
	v_add_f16_sdwa v71, v71, v0 dst_sel:DWORD dst_unused:UNUSED_PAD src0_sel:DWORD src1_sel:WORD_1
	v_add_f16_e32 v73, v73, v0
	;; [unrolled: 2-line block ×10, first 2 shown]
	v_alignbit_b32 v0, v0, v0, 16
	v_pk_add_f16 v1, v1, v0 op_sel:[0,1] op_sel_hi:[1,0]
	v_alignbit_b32 v44, v44, v44, 16
	v_pk_add_f16 v1, v44, v1
	v_pk_add_f16 v1, v15, v1
	;; [unrolled: 1-line block ×13, first 2 shown]
	v_mul_f16_sdwa v3, v20, s23 dst_sel:DWORD dst_unused:UNUSED_PAD src0_sel:WORD_1 src1_sel:DWORD
	v_pk_add_f16 v2, v11, v1
	v_fma_f16 v1, v32, s10, v3
	v_mul_f16_sdwa v4, v17, s11 dst_sel:DWORD dst_unused:UNUSED_PAD src0_sel:WORD_1 src1_sel:DWORD
	v_add_f16_e32 v1, v1, v63
	v_fma_f16 v5, v22, s18, v4
	v_add_f16_e32 v1, v5, v1
	v_mul_f16_sdwa v5, v19, s19 dst_sel:DWORD dst_unused:UNUSED_PAD src0_sel:WORD_1 src1_sel:DWORD
	v_fma_f16 v6, v25, s21, v5
	v_add_f16_e32 v1, v6, v1
	v_mul_f16_sdwa v6, v21, s31 dst_sel:DWORD dst_unused:UNUSED_PAD src0_sel:WORD_1 src1_sel:DWORD
	;; [unrolled: 3-line block ×4, first 2 shown]
	v_fma_f16 v9, v30, s8, v8
	s_movk_i32 s29, 0x35c8
	v_add_f16_e32 v1, v9, v1
	v_mul_f16_sdwa v9, v29, s29 dst_sel:DWORD dst_unused:UNUSED_PAD src0_sel:WORD_1 src1_sel:DWORD
	v_fma_f16 v10, v31, s4, v9
	v_add_f16_e32 v1, v10, v1
	v_mul_f16_e32 v10, 0xb8d2, v16
	v_fma_f16 v11, v20, s30, v10
	v_mul_f16_e32 v12, 0xbbdd, v37
	v_add_f16_e32 v11, v11, v65
	v_fma_f16 v13, v17, s19, v12
	v_add_f16_e32 v11, v13, v11
	v_mul_f16_e32 v13, 0xb461, v38
	v_fma_f16 v15, v19, s9, v13
	v_add_f16_e32 v11, v15, v11
	v_mul_f16_e32 v15, 0x39e9, v16
	v_add_f16_e32 v15, v46, v15
	v_mul_f16_e32 v44, 0x3722, v37
	v_add_f16_e32 v15, v15, v61
	v_add_f16_e32 v44, v50, v44
	;; [unrolled: 1-line block ×3, first 2 shown]
	v_mul_f16_e32 v44, 0x2de8, v38
	v_add_f16_e32 v44, v52, v44
	v_add_f16_e32 v15, v44, v15
	v_mul_f16_e32 v44, 0xb461, v39
	v_add_f16_e32 v44, v54, v44
	v_add_f16_e32 v15, v44, v15
	;; [unrolled: 3-line block ×5, first 2 shown]
	v_mul_f16_e32 v44, 0x39e9, v32
	v_sub_f16_e32 v42, v44, v42
	v_mul_f16_e32 v44, 0x3722, v22
	v_add_f16_e32 v42, v42, v60
	v_sub_f16_e32 v43, v44, v43
	v_add_f16_e32 v42, v43, v42
	v_mul_f16_e32 v43, 0x2de8, v25
	v_sub_f16_e32 v43, v43, v45
	v_add_f16_e32 v42, v43, v42
	v_mul_f16_e32 v43, 0xb461, v27
	;; [unrolled: 3-line block ×5, first 2 shown]
	v_sub_f16_e32 v43, v43, v55
	v_add_f16_e32 v42, v43, v42
	v_pk_add_f16 v2, v41, v2
	v_mul_lo_u16_e32 v41, 17, v47
	v_pack_b32_f16 v15, v42, v15
	v_lshlrev_b32_e32 v41, 2, v41
	ds_write2_b32 v41, v2, v15 offset1:1
	v_mul_f16_e32 v2, 0x39e9, v39
	v_fma_f16 v15, v21, s25, v2
	v_add_f16_e32 v11, v15, v11
	v_mul_f16_e32 v15, 0x3b76, v40
	v_fma_f16 v42, v23, s29, v15
	v_add_f16_e32 v11, v42, v11
	v_mul_f16_e32 v42, 0x2de8, v35
	v_fma_f16 v43, v26, s27, v42
	v_add_f16_e32 v11, v43, v11
	v_mul_f16_e32 v43, 0xbacd, v36
	v_fma_f16 v44, v29, s31, v43
	v_add_f16_e32 v11, v44, v11
	s_movk_i32 s34, 0x31e1
	v_mul_f16_e32 v44, 0xbbdd, v16
	v_fma_f16 v45, v20, s34, v44
	v_mul_f16_e32 v46, 0xb461, v37
	v_add_f16_e32 v45, v45, v67
	v_fma_f16 v49, v17, s9, v46
	v_add_f16_e32 v45, v49, v45
	v_mul_f16_e32 v49, 0x3b76, v38
	v_fma_f16 v50, v19, s22, v49
	v_add_f16_e32 v45, v50, v45
	v_mul_f16_e32 v50, 0x3722, v39
	;; [unrolled: 3-line block ×3, first 2 shown]
	v_fma_f16 v52, v23, s31, v51
	v_add_f16_e32 v45, v52, v45
	v_mul_f16_sdwa v52, v20, s19 dst_sel:DWORD dst_unused:UNUSED_PAD src0_sel:WORD_1 src1_sel:DWORD
	v_fma_f16 v53, v32, s21, v52
	v_mul_f16_sdwa v54, v17, s28 dst_sel:DWORD dst_unused:UNUSED_PAD src0_sel:WORD_1 src1_sel:DWORD
	v_add_f16_e32 v53, v53, v69
	v_fma_f16 v55, v22, s16, v54
	v_add_f16_e32 v53, v55, v53
	v_mul_f16_sdwa v55, v19, s29 dst_sel:DWORD dst_unused:UNUSED_PAD src0_sel:WORD_1 src1_sel:DWORD
	v_fma_f16 v56, v25, s4, v55
	v_add_f16_e32 v53, v56, v53
	v_mul_f16_sdwa v56, v21, s24 dst_sel:DWORD dst_unused:UNUSED_PAD src0_sel:WORD_1 src1_sel:DWORD
	v_fma_f16 v57, v27, s8, v56
	v_add_f16_e32 v53, v57, v53
	v_mul_f16_sdwa v57, v23, s17 dst_sel:DWORD dst_unused:UNUSED_PAD src0_sel:WORD_1 src1_sel:DWORD
	v_fma_f16 v58, v28, s20, v57
	v_add_f16_e32 v53, v58, v53
	v_mul_f16_sdwa v58, v26, s30 dst_sel:DWORD dst_unused:UNUSED_PAD src0_sel:WORD_1 src1_sel:DWORD
	v_fma_f16 v60, v30, s18, v58
	s_movk_i32 s33, 0x3964
	v_add_f16_e32 v53, v60, v53
	v_mul_f16_sdwa v60, v29, s33 dst_sel:DWORD dst_unused:UNUSED_PAD src0_sel:WORD_1 src1_sel:DWORD
	v_fma_f16 v61, v31, s5, v60
	v_add_f16_e32 v53, v61, v53
	v_mul_f16_e32 v61, 0xbacd, v16
	v_fma_f16 v63, v20, s17, v61
	v_mul_f16_e32 v65, 0x39e9, v37
	v_add_f16_e32 v63, v63, v71
	v_fma_f16 v67, v17, s25, v65
	v_add_f16_e32 v63, v67, v63
	v_mul_f16_e32 v67, 0x3722, v38
	v_fma_f16 v69, v19, s26, v67
	v_add_f16_e32 v63, v69, v63
	v_mul_f16_e32 v69, 0xbbdd, v39
	;; [unrolled: 3-line block ×5, first 2 shown]
	v_fma_f16 v83, v29, s30, v82
	v_add_f16_e32 v63, v83, v63
	v_mul_f16_sdwa v83, v20, s31 dst_sel:DWORD dst_unused:UNUSED_PAD src0_sel:WORD_1 src1_sel:DWORD
	v_fma_f16 v84, v32, s20, v83
	v_add_f16_e32 v73, v84, v73
	v_mul_f16_sdwa v84, v17, s33 dst_sel:DWORD dst_unused:UNUSED_PAD src0_sel:WORD_1 src1_sel:DWORD
	;; [unrolled: 3-line block ×7, first 2 shown]
	v_fma_f16 v90, v31, s18, v89
	v_add_f16_e32 v73, v90, v73
	v_mul_f16_e32 v90, 0xb461, v16
	v_fma_f16 v91, v20, s9, v90
	v_add_f16_e32 v75, v91, v75
	v_mul_f16_e32 v91, 0x3b76, v37
	;; [unrolled: 3-line block ×7, first 2 shown]
	v_fma_f16 v97, v29, s24, v96
	v_add_f16_e32 v75, v97, v75
	v_mul_f16_sdwa v97, v20, s28 dst_sel:DWORD dst_unused:UNUSED_PAD src0_sel:WORD_1 src1_sel:DWORD
	v_fma_f16 v98, v32, s16, v97
	v_add_f16_e32 v77, v98, v77
	v_mul_f16_sdwa v98, v17, s22 dst_sel:DWORD dst_unused:UNUSED_PAD src0_sel:WORD_1 src1_sel:DWORD
	;; [unrolled: 3-line block ×7, first 2 shown]
	v_fma_f16 v104, v31, s8, v103
	v_add_f16_e32 v77, v104, v77
	v_mul_f16_e32 v104, 0x3722, v16
	v_fma_f16 v105, v20, s24, v104
	v_mul_f16_e32 v37, 0x2de8, v37
	v_add_f16_e32 v78, v105, v78
	v_fma_f16 v105, v17, s27, v37
	v_mul_f16_e32 v38, 0xb8d2, v38
	v_add_f16_e32 v78, v105, v78
	;; [unrolled: 3-line block ×4, first 2 shown]
	v_fma_f16 v105, v23, s34, v40
	v_add_f16_e32 v78, v105, v78
	v_mul_f16_e32 v105, 0x39e9, v35
	v_fma_f16 v106, v26, s25, v105
	v_add_f16_e32 v78, v106, v78
	v_mul_f16_e32 v106, 0xb461, v36
	v_fma_f16 v107, v29, s28, v106
	v_add_f16_e32 v78, v107, v78
	v_mul_f16_sdwa v107, v20, s26 dst_sel:DWORD dst_unused:UNUSED_PAD src0_sel:WORD_1 src1_sel:DWORD
	v_fma_f16 v104, v20, s26, v104
	v_fma_f16 v108, v32, s8, v107
	v_add_f16_e32 v59, v104, v59
	v_fma_f16 v37, v17, s23, v37
	v_add_f16_e32 v80, v108, v80
	v_mul_f16_sdwa v108, v17, s23 dst_sel:DWORD dst_unused:UNUSED_PAD src0_sel:WORD_1 src1_sel:DWORD
	v_add_f16_e32 v37, v37, v59
	v_fma_f16 v38, v19, s30, v38
	v_fma_f16 v109, v22, s10, v108
	v_add_f16_e32 v37, v38, v37
	v_fma_f16 v38, v21, s22, v39
	v_add_f16_e32 v80, v109, v80
	v_mul_f16_sdwa v109, v19, s30 dst_sel:DWORD dst_unused:UNUSED_PAD src0_sel:WORD_1 src1_sel:DWORD
	v_add_f16_e32 v37, v38, v37
	;; [unrolled: 7-line block ×3, first 2 shown]
	v_fma_f16 v38, v29, s9, v106
	v_fma_f16 v111, v27, s4, v110
	v_add_f16_e32 v37, v38, v37
	v_fma_f16 v38, v32, s8, -v107
	v_add_f16_e32 v80, v111, v80
	v_mul_f16_sdwa v111, v23, s19 dst_sel:DWORD dst_unused:UNUSED_PAD src0_sel:WORD_1 src1_sel:DWORD
	v_add_f16_e32 v38, v38, v79
	v_fma_f16 v39, v22, s10, -v108
	v_fma_f16 v112, v28, s21, v111
	v_add_f16_e32 v38, v39, v38
	v_fma_f16 v39, v25, s18, -v109
	v_add_f16_e32 v80, v112, v80
	v_mul_f16_sdwa v112, v26, s33 dst_sel:DWORD dst_unused:UNUSED_PAD src0_sel:WORD_1 src1_sel:DWORD
	v_add_f16_e32 v38, v39, v38
	v_fma_f16 v39, v27, s4, -v110
	;; [unrolled: 7-line block ×3, first 2 shown]
	v_add_f16_e32 v38, v39, v38
	v_fma_f16 v39, v31, s16, -v113
	v_add_f16_e32 v38, v39, v38
	v_fma_f16 v39, v20, s28, v90
	v_add_f16_e32 v39, v39, v74
	v_fma_f16 v40, v17, s22, v91
	;; [unrolled: 2-line block ×5, first 2 shown]
	v_fma_f16 v44, v20, s19, v44
	v_add_f16_e32 v39, v40, v39
	v_fma_f16 v40, v26, s19, v95
	v_add_f16_e32 v44, v44, v66
	;; [unrolled: 2-line block ×5, first 2 shown]
	v_fma_f16 v40, v32, s16, -v97
	v_add_f16_e32 v44, v46, v44
	v_fma_f16 v46, v21, s24, v50
	v_add_f16_e32 v40, v40, v76
	v_fma_f16 v59, v22, s4, -v98
	v_add_f16_e32 v44, v46, v44
	v_fma_f16 v46, v23, s17, v51
	v_mul_f16_e32 v35, 0xb8d2, v35
	v_add_f16_e32 v40, v59, v40
	v_fma_f16 v59, v25, s20, -v99
	v_add_f16_e32 v44, v46, v44
	v_fma_f16 v46, v26, s30, v35
	v_mul_f16_e32 v36, 0x39e9, v36
	v_add_f16_e32 v40, v59, v40
	v_fma_f16 v59, v27, s10, -v100
	v_add_f16_e32 v44, v46, v44
	v_fma_f16 v46, v29, s33, v36
	v_add_f16_e32 v40, v59, v40
	v_fma_f16 v59, v28, s5, -v101
	v_add_f16_e32 v44, v46, v44
	v_fma_f16 v46, v32, s21, -v52
	;; [unrolled: 2-line block ×4, first 2 shown]
	v_fma_f16 v3, v32, s10, -v3
	v_add_f16_e32 v40, v59, v40
	v_fma_f16 v59, v31, s8, -v103
	v_add_f16_e32 v46, v49, v46
	;; [unrolled: 2-line block ×4, first 2 shown]
	v_fma_f16 v59, v20, s31, v61
	v_add_f16_e32 v46, v49, v46
	v_fma_f16 v49, v27, s8, -v56
	v_fma_f16 v10, v20, s11, v10
	v_add_f16_e32 v3, v4, v3
	v_fma_f16 v5, v25, s21, -v5
	v_add_f16_e32 v59, v59, v70
	v_fma_f16 v61, v17, s33, v65
	v_add_f16_e32 v46, v49, v46
	v_fma_f16 v49, v28, s20, -v57
	v_add_f16_e32 v10, v10, v64
	v_fma_f16 v12, v17, s34, v12
	v_add_f16_e32 v3, v5, v3
	v_fma_f16 v6, v27, s20, -v6
	v_add_f16_e32 v59, v61, v59
	v_fma_f16 v61, v19, s24, v67
	v_add_f16_e32 v46, v49, v46
	s_mov_b32 s24, 0x39e93722
	v_fma_f16 v49, v30, s18, -v58
	v_add_f16_e32 v10, v12, v10
	v_fma_f16 v13, v19, s28, v13
	v_add_f16_e32 v3, v6, v3
	v_fma_f16 v7, v28, s16, -v7
	v_add_f16_e32 v46, v49, v46
	v_pk_mul_f16 v49, v18, s24
	s_mov_b32 s24, 0xbb29b964
	v_fma_f16 v50, v31, s5, -v60
	s_mov_b32 s30, 0xba62bbf7
	v_add_f16_e32 v10, v13, v10
	v_fma_f16 v2, v21, s33, v2
	v_add_f16_e32 v3, v7, v3
	v_fma_f16 v8, v30, s8, -v8
	v_add_f16_e32 v59, v61, v59
	v_fma_f16 v61, v21, s19, v69
	v_add_f16_e32 v46, v50, v46
	v_pk_fma_f16 v50, v14, s24, v49 op_sel:[0,0,1] op_sel_hi:[1,1,0] neg_lo:[1,0,0] neg_hi:[1,0,0]
	s_mov_b32 s25, 0xb8d22de8
	v_pk_mul_f16 v51, v20, s30
	s_mov_b32 s30, 0xb8d2bbdd
	v_add_f16_e32 v2, v2, v10
	v_fma_f16 v15, v23, s22, v15
	v_add_f16_e32 v3, v8, v3
	v_fma_f16 v9, v31, s4, -v9
	v_pk_fma_f16 v49, v14, s24, v49 op_sel:[0,0,1] op_sel_hi:[1,1,0]
	s_mov_b32 s24, 0xffff
	v_add_f16_e32 v59, v61, v59
	v_fma_f16 v61, v23, s27, v71
	v_pk_fma_f16 v12, v16, s25, v51 neg_lo:[0,0,1] neg_hi:[0,0,1]
	v_pk_mul_f16 v13, v22, s30
	s_mov_b32 s28, 0x31e1ba62
	s_mov_b32 s30, 0xbbddb461
	v_add_f16_e32 v2, v15, v2
	v_fma_f16 v42, v26, s23, v42
	v_add_f16_e32 v3, v9, v3
	v_add_f16_e32 v9, v50, v0
	v_bfi_b32 v50, s24, v49, v50
	v_pk_fma_f16 v51, v16, s25, v51
	v_add_f16_e32 v59, v61, v59
	v_fma_f16 v61, v26, s22, v81
	v_pk_fma_f16 v10, v17, s28, v13 op_sel:[0,0,1] op_sel_hi:[1,1,0] neg_lo:[1,0,0] neg_hi:[1,0,0]
	v_pk_mul_f16 v15, v25, s30
	s_mov_b32 s22, 0x3bb2b1e1
	v_add_f16_e32 v2, v42, v2
	s_mov_b32 s23, 0xbacd39e9
	v_fma_f16 v43, v29, s17, v43
	v_add_f16_e32 v9, v12, v9
	v_bfi_b32 v12, s24, v51, v12
	v_pk_fma_f16 v13, v17, s28, v13 op_sel:[0,0,1] op_sel_hi:[1,1,0]
	v_pk_add_f16 v50, v50, v0
	v_add_f16_e32 v59, v61, v59
	v_fma_f16 v61, v29, s11, v82
	v_pk_fma_f16 v42, v19, s22, v15 op_sel:[0,0,1] op_sel_hi:[1,1,0] neg_lo:[1,0,0] neg_hi:[1,0,0]
	v_add_f16_e32 v2, v43, v2
	v_pk_mul_f16 v43, v27, s23
	s_mov_b32 s23, 0x39643836
	s_mov_b32 s30, 0xb4613b76
	v_add_f16_e32 v9, v10, v9
	v_pk_fma_f16 v15, v19, s22, v15 op_sel:[0,0,1] op_sel_hi:[1,1,0]
	v_pk_add_f16 v12, v12, v50
	v_bfi_b32 v10, s24, v13, v10
	v_add_f16_e32 v59, v61, v59
	v_fma_f16 v61, v32, s20, -v83
	v_pk_fma_f16 v32, v21, s23, v43 op_sel:[0,0,1] op_sel_hi:[1,1,0] neg_lo:[1,0,0] neg_hi:[1,0,0]
	v_pk_mul_f16 v52, v28, s30
	s_mov_b32 s30, 0xb5c83bb2
	s_mov_b32 s31, 0x37222de8
	v_add_f16_e32 v9, v42, v9
	v_pk_fma_f16 v43, v21, s23, v43 op_sel:[0,0,1] op_sel_hi:[1,1,0]
	v_pk_add_f16 v10, v10, v12
	v_bfi_b32 v12, s24, v15, v42
	v_add_f16_e32 v61, v61, v72
	v_fma_f16 v65, v22, s5, -v84
	v_pk_fma_f16 v4, v23, s30, v52 op_sel:[0,0,1] op_sel_hi:[1,1,0] neg_lo:[1,0,0] neg_hi:[1,0,0]
	v_pk_mul_f16 v5, v30, s31
	s_mov_b32 s31, 0xbbf73b29
	v_add_f16_e32 v9, v32, v9
	v_pk_fma_f16 v52, v23, s30, v52 op_sel:[0,0,1] op_sel_hi:[1,1,0]
	v_pk_add_f16 v10, v12, v10
	v_bfi_b32 v12, s24, v43, v32
	v_add_f16_e32 v61, v65, v61
	v_fma_f16 v65, v25, s8, -v85
	v_pk_fma_f16 v6, v26, s31, v5 op_sel:[0,0,1] op_sel_hi:[1,1,0] neg_lo:[1,0,0] neg_hi:[1,0,0]
	s_mov_b32 s34, 0x3b76bacd
	v_add_f16_e32 v9, v4, v9
	v_pk_fma_f16 v5, v26, s31, v5 op_sel:[0,0,1] op_sel_hi:[1,1,0]
	v_pk_add_f16 v10, v12, v10
	v_bfi_b32 v4, s24, v52, v4
	v_add_f16_e32 v61, v65, v61
	v_fma_f16 v65, v27, s21, -v86
	v_pk_mul_f16 v7, v31, s34
	s_mov_b32 s34, 0xb83635c8
	v_pk_add_f16 v49, v49, v0
	v_add_f16_e32 v9, v6, v9
	v_pk_add_f16 v4, v4, v10
	v_bfi_b32 v6, s24, v5, v6
	v_add_f16_e32 v61, v65, v61
	v_fma_f16 v65, v28, s10, -v87
	v_pk_add_f16 v49, v51, v49
	v_pk_fma_f16 v51, v29, s34, v7 op_sel:[0,0,1] op_sel_hi:[1,1,0] neg_lo:[1,0,0] neg_hi:[1,0,0]
	v_pk_add_f16 v4, v6, v4
	v_pk_fma_f16 v6, v29, s34, v7 op_sel:[0,0,1] op_sel_hi:[1,1,0]
	v_add_f16_e32 v61, v65, v61
	v_fma_f16 v65, v30, s4, -v88
	v_bfi_b32 v6, s24, v6, v51
	v_add_f16_e32 v61, v65, v61
	v_fma_f16 v65, v31, s18, -v89
	v_pk_add_f16 v4, v6, v4
	v_add_f16_e32 v61, v65, v61
	v_alignbit_b32 v2, v2, v4, 16
	v_pack_b32_f16 v3, v3, v4
	ds_write2_b32 v41, v3, v2 offset0:2 offset1:3
	v_pack_b32_f16 v2, v61, v59
	v_pack_b32_f16 v3, v46, v44
	ds_write2_b32 v41, v3, v2 offset0:4 offset1:5
	v_pack_b32_f16 v2, v38, v37
	v_pack_b32_f16 v3, v40, v39
	ds_write2_b32 v41, v3, v2 offset0:6 offset1:7
	v_pk_mul_f16 v2, v18, s21 op_sel_hi:[1,0]
	v_pk_fma_f16 v3, v14, s19, v2 op_sel:[0,0,1] op_sel_hi:[1,0,0] neg_lo:[1,0,0] neg_hi:[1,0,0]
	v_pk_mul_f16 v4, v20, s29 op_sel_hi:[1,0]
	v_pk_add_f16 v3, v3, v0
	v_pk_fma_f16 v6, v16, s4, v4 op_sel_hi:[1,0,1] neg_lo:[0,0,1] neg_hi:[0,0,1]
	v_pk_add_f16 v3, v6, v3
	v_pk_mul_f16 v6, v22, s20 op_sel_hi:[1,0]
	v_pk_fma_f16 v10, v17, s17, v6 op_sel:[0,0,1] op_sel_hi:[1,0,0] neg_lo:[1,0,0] neg_hi:[1,0,0]
	v_pk_add_f16 v3, v10, v3
	v_pk_mul_f16 v10, v25, s5 op_sel_hi:[1,0]
	v_pk_fma_f16 v12, v19, s33, v10 op_sel:[0,0,1] op_sel_hi:[1,0,0] neg_lo:[1,0,0] neg_hi:[1,0,0]
	v_pk_add_f16 v3, v12, v3
	v_pk_mul_f16 v12, v27, s18 op_sel_hi:[1,0]
	v_pk_fma_f16 v2, v14, s19, v2 op_sel:[0,0,1] op_sel_hi:[1,0,0]
	v_pk_add_f16 v49, v13, v49
	v_pk_fma_f16 v13, v21, s11, v12 op_sel:[0,0,1] op_sel_hi:[1,0,0] neg_lo:[1,0,0] neg_hi:[1,0,0]
	v_pk_add_f16 v0, v2, v0
	v_pk_fma_f16 v2, v16, s4, v4 op_sel_hi:[1,0,1]
	v_pk_add_f16 v3, v13, v3
	v_pk_mul_f16 v13, v28, s8 op_sel_hi:[1,0]
	v_pk_add_f16 v0, v2, v0
	v_pk_fma_f16 v2, v17, s17, v6 op_sel:[0,0,1] op_sel_hi:[1,0,0]
	v_pk_add_f16 v49, v15, v49
	v_pk_fma_f16 v15, v23, s26, v13 op_sel:[0,0,1] op_sel_hi:[1,0,0] neg_lo:[1,0,0] neg_hi:[1,0,0]
	v_pk_add_f16 v0, v2, v0
	v_pk_fma_f16 v2, v19, s33, v10 op_sel:[0,0,1] op_sel_hi:[1,0,0]
	v_pk_add_f16 v3, v15, v3
	v_pk_mul_f16 v15, v30, s16 op_sel_hi:[1,0]
	v_pk_add_f16 v0, v2, v0
	v_pk_fma_f16 v2, v21, s11, v12 op_sel:[0,0,1] op_sel_hi:[1,0,0]
	v_pk_fma_f16 v18, v26, s9, v15 op_sel:[0,0,1] op_sel_hi:[1,0,0] neg_lo:[1,0,0] neg_hi:[1,0,0]
	v_pk_add_f16 v0, v2, v0
	v_pk_fma_f16 v2, v23, s26, v13 op_sel:[0,0,1] op_sel_hi:[1,0,0]
	v_pk_add_f16 v3, v18, v3
	v_pk_mul_f16 v18, v31, s10 op_sel_hi:[1,0]
	v_pk_add_f16 v0, v2, v0
	v_pk_fma_f16 v2, v26, s9, v15 op_sel:[0,0,1] op_sel_hi:[1,0,0]
	v_pk_fma_f16 v20, v29, s27, v18 op_sel:[0,0,1] op_sel_hi:[1,0,0] neg_lo:[1,0,0] neg_hi:[1,0,0]
	v_pk_add_f16 v0, v2, v0
	v_pk_fma_f16 v2, v29, s27, v18 op_sel:[0,0,1] op_sel_hi:[1,0,0]
	v_fma_f16 v114, v31, s16, v113
	v_pk_add_f16 v3, v20, v3
	v_pk_add_f16 v0, v2, v0
	v_add_f16_e32 v80, v114, v80
	v_alignbit_b32 v2, v3, v0, 16
	v_alignbit_b32 v0, v0, v3, 16
	ds_write2_b32 v41, v0, v2 offset0:8 offset1:9
	v_pack_b32_f16 v0, v77, v75
	v_pack_b32_f16 v2, v80, v78
	v_pk_mul_f16 v8, v29, s34
	v_pk_add_f16 v49, v43, v49
	v_fma_f16 v35, v26, s11, v35
	ds_write2_b32 v41, v2, v0 offset0:10 offset1:11
	v_pack_b32_f16 v0, v73, v63
	v_pk_add_f16 v49, v52, v49
	v_mul_f16_e32 v50, 0x3964, v29
	ds_write_b32 v41, v0 offset:48
	v_pack_b32_f16 v0, v35, v7
	v_bfi_b32 v2, s24, v45, v8
	v_pk_add_f16 v0, v0, v2
	v_bfi_b32 v2, s24, v50, v49
	v_pk_add_f16 v2, v36, v2 neg_lo:[0,1] neg_hi:[0,1]
	v_pk_add_f16 v3, v5, v49
	v_bfi_b32 v2, s24, v2, v3
	v_pk_add_f16 v0, v2, v0
	v_add_f16_e32 v9, v51, v9
	v_alignbit_b32 v2, v11, v0, 16
	v_pack_b32_f16 v0, v53, v0
	s_mov_b32 s4, 0x5040100
	ds_write2_b32 v41, v0, v2 offset0:13 offset1:14
	v_pack_b32_f16 v0, v1, v9
	v_perm_b32 v1, v34, v33, s4
	ds_write2_b32 v41, v0, v1 offset0:15 offset1:16
.LBB0_7:
	s_or_b64 exec, exec, s[2:3]
	s_load_dwordx4 s[8:11], s[0:1], 0x0
	s_movk_i32 s0, 0x165
	v_add_co_u32_e64 v19, s[0:1], s0, v47
	s_movk_i32 s0, 0x1dc
	v_add_co_u32_e64 v20, s[0:1], s0, v47
	;; [unrolled: 2-line block ×5, first 2 shown]
	s_movk_i32 s0, 0xf1
	v_mul_lo_u16_sdwa v25, v47, s0 dst_sel:DWORD dst_unused:UNUSED_PAD src0_sel:BYTE_0 src1_sel:DWORD
	v_lshrrev_b16_e32 v26, 12, v25
	v_add_u16_e32 v2, 0x77, v47
	v_mul_lo_u16_e32 v0, 17, v26
	v_mul_lo_u16_sdwa v28, v2, s0 dst_sel:DWORD dst_unused:UNUSED_PAD src0_sel:BYTE_0 src1_sel:DWORD
	v_sub_u16_e32 v0, v47, v0
	v_lshrrev_b16_e32 v29, 12, v28
	v_and_b32_e32 v27, 0xff, v0
	v_mul_lo_u16_e32 v0, 17, v29
	v_sub_u16_e32 v0, v2, v0
	v_and_b32_e32 v30, 0xff, v0
	v_add_u16_e32 v0, 0xee, v47
	v_lshlrev_b32_e32 v3, 2, v27
	v_mul_u32_u24_e32 v1, 0xf0f1, v0
	s_waitcnt lgkmcnt(0)
	s_barrier
	s_mov_b32 s0, 0xf0f1
	v_lshrrev_b32_e32 v31, 20, v1
	global_load_dword v50, v3, s[14:15]
	v_lshlrev_b32_e32 v4, 2, v30
	global_load_dword v51, v4, s[14:15]
	v_mul_lo_u16_e32 v5, 17, v31
	v_mul_u32_u24_sdwa v35, v19, s0 dst_sel:DWORD dst_unused:UNUSED_PAD src0_sel:WORD_0 src1_sel:DWORD
	v_sub_u16_e32 v32, v0, v5
	v_lshrrev_b32_e32 v36, 20, v35
	v_lshlrev_b32_e32 v5, 2, v32
	global_load_dword v52, v5, s[14:15]
	v_mul_lo_u16_e32 v6, 17, v36
	v_mul_u32_u24_sdwa v38, v20, s0 dst_sel:DWORD dst_unused:UNUSED_PAD src0_sel:WORD_0 src1_sel:DWORD
	v_sub_u16_e32 v37, v19, v6
	v_lshrrev_b32_e32 v39, 20, v38
	v_lshlrev_b32_e32 v3, 2, v37
	v_mul_lo_u16_e32 v4, 17, v39
	v_mul_u32_u24_sdwa v41, v21, s0 dst_sel:DWORD dst_unused:UNUSED_PAD src0_sel:WORD_0 src1_sel:DWORD
	v_sub_u16_e32 v40, v20, v4
	v_lshrrev_b32_e32 v42, 20, v41
	global_load_dword v53, v3, s[14:15]
	v_mul_u32_u24_sdwa v44, v22, s0 dst_sel:DWORD dst_unused:UNUSED_PAD src0_sel:WORD_0 src1_sel:DWORD
	v_lshlrev_b32_e32 v4, 2, v40
	global_load_dword v54, v4, s[14:15]
	v_mul_lo_u16_e32 v5, 17, v42
	v_lshrrev_b32_e32 v45, 20, v44
	v_sub_u16_e32 v43, v21, v5
	v_mul_lo_u16_e32 v4, 17, v45
	v_lshlrev_b32_e32 v3, 2, v43
	v_sub_u16_e32 v46, v22, v4
	v_mul_u32_u24_sdwa v72, v23, s0 dst_sel:DWORD dst_unused:UNUSED_PAD src0_sel:WORD_0 src1_sel:DWORD
	global_load_dword v55, v3, s[14:15]
	v_lshlrev_b32_e32 v3, 2, v46
	v_lshrrev_b32_e32 v65, 20, v72
	global_load_dword v56, v3, s[14:15]
	v_mul_lo_u16_e32 v3, 17, v65
	v_sub_u16_e32 v66, v23, v3
	v_lshlrev_b32_e32 v3, 2, v66
	global_load_dword v57, v3, s[14:15]
	v_mov_b32_e32 v3, 2
	v_lshlrev_b32_sdwa v49, v3, v47 dst_sel:DWORD dst_unused:UNUSED_PAD src0_sel:DWORD src1_sel:WORD_0
	v_add_u32_e32 v74, 0xe00, v49
	ds_read2_b32 v[5:6], v74 offset0:56 offset1:175
	v_add_u32_e32 v76, 0x1200, v49
	ds_read2_b32 v[9:10], v76 offset0:38 offset1:157
	;; [unrolled: 2-line block ×3, first 2 shown]
	s_waitcnt lgkmcnt(2)
	v_lshrrev_b32_e32 v59, 16, v5
	v_lshrrev_b32_e32 v61, 16, v6
	s_waitcnt lgkmcnt(1)
	v_lshrrev_b32_e32 v63, 16, v9
	v_lshrrev_b32_e32 v67, 16, v10
	v_add_u32_e32 v82, 0x1800, v49
	ds_read2_b32 v[17:18], v82 offset0:130 offset1:249
	s_waitcnt lgkmcnt(1)
	v_lshrrev_b32_e32 v69, 16, v13
	v_lshrrev_b32_e32 v71, 16, v14
	ds_read2_b32 v[3:4], v49 offset1:119
	v_add_u32_e32 v75, 0x200, v49
	s_waitcnt lgkmcnt(1)
	v_lshrrev_b32_e32 v80, 16, v17
	v_lshrrev_b32_e32 v83, 16, v18
	ds_read2_b32 v[7:8], v75 offset0:110 offset1:229
	s_waitcnt lgkmcnt(1)
	v_lshrrev_b32_e32 v58, 16, v3
	v_mul_lo_u16_e32 v26, 34, v26
	v_lshrrev_b32_e32 v60, 16, v4
	v_add_u32_e32 v77, 0x600, v49
	v_and_b32_e32 v26, 0xfe, v26
	ds_read2_b32 v[11:12], v77 offset0:92 offset1:211
	v_add_u32_e32 v79, 0xa00, v49
	v_add_lshl_u32 v142, v26, v27, 2
	s_waitcnt lgkmcnt(1)
	v_lshrrev_b32_e32 v62, 16, v7
	ds_read2_b32 v[15:16], v79 offset0:74 offset1:193
	s_waitcnt vmcnt(0) lgkmcnt(0)
	s_barrier
	v_lshrrev_b32_e32 v64, 16, v8
	v_lshrrev_b32_e32 v68, 16, v11
	;; [unrolled: 1-line block ×5, first 2 shown]
	v_lshrrev_b16_e32 v25, 13, v25
	v_lshrrev_b16_e32 v27, 13, v28
	s_movk_i32 s4, 0x44
	v_cmp_gt_u16_e64 s[0:1], 34, v47
	v_mul_f16_sdwa v84, v59, v50 dst_sel:DWORD dst_unused:UNUSED_PAD src0_sel:DWORD src1_sel:WORD_1
	v_fma_f16 v84, v5, v50, -v84
	v_mul_f16_sdwa v5, v5, v50 dst_sel:DWORD dst_unused:UNUSED_PAD src0_sel:DWORD src1_sel:WORD_1
	v_fma_f16 v5, v59, v50, v5
	v_mul_f16_sdwa v59, v61, v51 dst_sel:DWORD dst_unused:UNUSED_PAD src0_sel:DWORD src1_sel:WORD_1
	v_fma_f16 v59, v6, v51, -v59
	v_mul_f16_sdwa v6, v6, v51 dst_sel:DWORD dst_unused:UNUSED_PAD src0_sel:DWORD src1_sel:WORD_1
	v_fma_f16 v6, v61, v51, v6
	;; [unrolled: 4-line block ×3, first 2 shown]
	v_sub_f16_e32 v5, v58, v5
	v_sub_f16_e32 v85, v4, v59
	;; [unrolled: 1-line block ×3, first 2 shown]
	v_fma_f16 v4, v4, 2.0, -v85
	v_fma_f16 v60, v60, 2.0, -v6
	v_sub_f16_e32 v61, v7, v61
	v_mul_f16_sdwa v63, v67, v53 dst_sel:DWORD dst_unused:UNUSED_PAD src0_sel:DWORD src1_sel:WORD_1
	v_fma_f16 v63, v10, v53, -v63
	v_mul_f16_sdwa v10, v10, v53 dst_sel:DWORD dst_unused:UNUSED_PAD src0_sel:DWORD src1_sel:WORD_1
	v_fma_f16 v10, v67, v53, v10
	v_mul_f16_sdwa v67, v69, v54 dst_sel:DWORD dst_unused:UNUSED_PAD src0_sel:DWORD src1_sel:WORD_1
	v_fma_f16 v67, v13, v54, -v67
	v_mul_f16_sdwa v13, v13, v54 dst_sel:DWORD dst_unused:UNUSED_PAD src0_sel:DWORD src1_sel:WORD_1
	v_fma_f16 v13, v69, v54, v13
	v_sub_f16_e32 v9, v62, v9
	v_fma_f16 v7, v7, 2.0, -v61
	v_fma_f16 v62, v62, 2.0, -v9
	v_mul_f16_sdwa v69, v71, v55 dst_sel:DWORD dst_unused:UNUSED_PAD src0_sel:DWORD src1_sel:WORD_1
	v_fma_f16 v69, v14, v55, -v69
	v_mul_f16_sdwa v14, v14, v55 dst_sel:DWORD dst_unused:UNUSED_PAD src0_sel:DWORD src1_sel:WORD_1
	v_fma_f16 v14, v71, v55, v14
	v_mul_f16_sdwa v71, v80, v56 dst_sel:DWORD dst_unused:UNUSED_PAD src0_sel:DWORD src1_sel:WORD_1
	v_fma_f16 v71, v17, v56, -v71
	v_mul_f16_sdwa v17, v17, v56 dst_sel:DWORD dst_unused:UNUSED_PAD src0_sel:DWORD src1_sel:WORD_1
	v_fma_f16 v17, v80, v56, v17
	;; [unrolled: 4-line block ×3, first 2 shown]
	v_sub_f16_e32 v83, v3, v84
	v_fma_f16 v3, v3, 2.0, -v83
	v_fma_f16 v84, v58, 2.0, -v5
	v_pack_b32_f16 v3, v3, v84
	v_pack_b32_f16 v5, v83, v5
	ds_write2_b32 v142, v3, v5 offset1:17
	v_mul_u32_u24_e32 v3, 34, v29
	v_add_lshl_u32 v145, v3, v30, 2
	v_pack_b32_f16 v3, v4, v60
	v_pack_b32_f16 v4, v85, v6
	ds_write2_b32 v145, v3, v4 offset1:17
	v_mad_legacy_u16 v3, v31, 34, v32
	v_sub_f16_e32 v63, v8, v63
	v_sub_f16_e32 v10, v64, v10
	v_lshlrev_b32_e32 v146, 2, v3
	v_pack_b32_f16 v3, v7, v62
	v_pack_b32_f16 v4, v61, v9
	v_fma_f16 v8, v8, 2.0, -v63
	v_fma_f16 v64, v64, 2.0, -v10
	ds_write2_b32 v146, v3, v4 offset1:17
	v_mad_legacy_u16 v3, v36, 34, v37
	v_sub_f16_e32 v67, v11, v67
	v_sub_f16_e32 v13, v68, v13
	v_lshlrev_b32_e32 v147, 2, v3
	v_pack_b32_f16 v3, v8, v64
	v_pack_b32_f16 v4, v63, v10
	v_fma_f16 v11, v11, 2.0, -v67
	v_fma_f16 v68, v68, 2.0, -v13
	;; [unrolled: 9-line block ×5, first 2 shown]
	ds_write2_b32 v151, v3, v4 offset1:17
	v_mad_legacy_u16 v3, v65, 34, v66
	v_lshlrev_b32_e32 v152, 2, v3
	v_pack_b32_f16 v3, v16, v81
	v_pack_b32_f16 v4, v80, v18
	ds_write2_b32 v152, v3, v4 offset1:17
	v_mul_lo_u16_e32 v3, 34, v25
	v_sub_u16_e32 v3, v47, v3
	v_and_b32_e32 v26, 0xff, v3
	v_mul_lo_u16_e32 v4, 34, v27
	v_lshlrev_b32_e32 v3, 2, v26
	v_sub_u16_e32 v4, v2, v4
	s_waitcnt lgkmcnt(0)
	s_barrier
	v_and_b32_e32 v28, 0xff, v4
	v_lshrrev_b32_e32 v29, 21, v1
	global_load_dword v66, v3, s[14:15] offset:68
	v_lshlrev_b32_e32 v4, 2, v28
	global_load_dword v67, v4, s[14:15] offset:68
	v_mul_lo_u16_e32 v5, 34, v29
	v_lshrrev_b32_e32 v31, 21, v35
	v_sub_u16_e32 v30, v0, v5
	v_mul_lo_u16_e32 v5, 34, v31
	v_lshlrev_b32_e32 v3, 2, v30
	v_sub_u16_e32 v19, v19, v5
	v_lshlrev_b32_e32 v4, 2, v19
	v_lshrrev_b32_e32 v32, 21, v38
	global_load_dword v68, v3, s[14:15] offset:68
	global_load_dword v69, v4, s[14:15] offset:68
	v_mul_lo_u16_e32 v3, 34, v32
	v_sub_u16_e32 v20, v20, v3
	v_lshrrev_b32_e32 v39, 21, v41
	v_lshlrev_b32_e32 v3, 2, v20
	v_mul_lo_u16_e32 v4, 34, v39
	v_lshrrev_b32_e32 v40, 21, v44
	v_sub_u16_e32 v21, v21, v4
	global_load_dword v70, v3, s[14:15] offset:68
	v_mul_lo_u16_e32 v4, 34, v40
	v_lshlrev_b32_e32 v3, 2, v21
	v_sub_u16_e32 v22, v22, v4
	global_load_dword v71, v3, s[14:15] offset:68
	v_lshlrev_b32_e32 v3, 2, v22
	v_lshrrev_b32_e32 v41, 21, v72
	global_load_dword v72, v3, s[14:15] offset:68
	v_mul_lo_u16_e32 v3, 34, v41
	v_sub_u16_e32 v23, v23, v3
	v_lshlrev_b32_e32 v3, 2, v23
	global_load_dword v73, v3, s[14:15] offset:68
	ds_read2_b32 v[3:4], v49 offset1:119
	ds_read2_b32 v[5:6], v74 offset0:56 offset1:175
	ds_read2_b32 v[9:10], v76 offset0:38 offset1:157
	;; [unrolled: 1-line block ×5, first 2 shown]
	s_waitcnt lgkmcnt(4)
	v_lshrrev_b32_e32 v36, 16, v5
	v_lshrrev_b32_e32 v38, 16, v6
	s_waitcnt lgkmcnt(3)
	v_lshrrev_b32_e32 v43, 16, v9
	v_lshrrev_b32_e32 v45, 16, v10
	ds_read2_b32 v[15:16], v79 offset0:74 offset1:193
	ds_read2_b32 v[17:18], v82 offset0:130 offset1:249
	s_waitcnt lgkmcnt(4)
	v_lshrrev_b32_e32 v74, 16, v13
	v_lshrrev_b32_e32 v76, 16, v14
	v_lshrrev_b32_e32 v37, 16, v4
	v_lshrrev_b32_e32 v35, 16, v3
	s_waitcnt lgkmcnt(0)
	v_lshrrev_b32_e32 v78, 16, v17
	v_lshrrev_b32_e32 v80, 16, v18
	;; [unrolled: 1-line block ×4, first 2 shown]
	s_waitcnt vmcnt(0)
	s_barrier
	v_lshrrev_b32_e32 v44, 16, v8
	v_lshrrev_b32_e32 v46, 16, v11
	;; [unrolled: 1-line block ×4, first 2 shown]
	v_mul_f16_sdwa v81, v36, v66 dst_sel:DWORD dst_unused:UNUSED_PAD src0_sel:DWORD src1_sel:WORD_1
	v_fma_f16 v81, v5, v66, -v81
	v_mul_f16_sdwa v5, v5, v66 dst_sel:DWORD dst_unused:UNUSED_PAD src0_sel:DWORD src1_sel:WORD_1
	v_fma_f16 v5, v36, v66, v5
	v_mul_f16_sdwa v36, v38, v67 dst_sel:DWORD dst_unused:UNUSED_PAD src0_sel:DWORD src1_sel:WORD_1
	v_fma_f16 v36, v6, v67, -v36
	v_mul_f16_sdwa v6, v6, v67 dst_sel:DWORD dst_unused:UNUSED_PAD src0_sel:DWORD src1_sel:WORD_1
	v_fma_f16 v6, v38, v67, v6
	v_sub_f16_e32 v6, v37, v6
	v_sub_f16_e32 v5, v35, v5
	v_fma_f16 v84, v37, 2.0, -v6
	v_mul_f16_sdwa v38, v43, v68 dst_sel:DWORD dst_unused:UNUSED_PAD src0_sel:DWORD src1_sel:WORD_1
	v_fma_f16 v38, v9, v68, -v38
	v_mul_f16_sdwa v9, v9, v68 dst_sel:DWORD dst_unused:UNUSED_PAD src0_sel:DWORD src1_sel:WORD_1
	v_fma_f16 v9, v43, v68, v9
	v_mul_f16_sdwa v43, v45, v69 dst_sel:DWORD dst_unused:UNUSED_PAD src0_sel:DWORD src1_sel:WORD_1
	v_fma_f16 v43, v10, v69, -v43
	v_mul_f16_sdwa v10, v10, v69 dst_sel:DWORD dst_unused:UNUSED_PAD src0_sel:DWORD src1_sel:WORD_1
	v_fma_f16 v10, v45, v69, v10
	v_sub_f16_e32 v83, v4, v36
	v_mul_f16_sdwa v45, v74, v70 dst_sel:DWORD dst_unused:UNUSED_PAD src0_sel:DWORD src1_sel:WORD_1
	v_fma_f16 v45, v13, v70, -v45
	v_mul_f16_sdwa v13, v13, v70 dst_sel:DWORD dst_unused:UNUSED_PAD src0_sel:DWORD src1_sel:WORD_1
	v_fma_f16 v13, v74, v70, v13
	v_mul_f16_sdwa v74, v76, v71 dst_sel:DWORD dst_unused:UNUSED_PAD src0_sel:DWORD src1_sel:WORD_1
	v_fma_f16 v74, v14, v71, -v74
	v_mul_f16_sdwa v14, v14, v71 dst_sel:DWORD dst_unused:UNUSED_PAD src0_sel:DWORD src1_sel:WORD_1
	v_fma_f16 v14, v76, v71, v14
	;; [unrolled: 4-line block ×3, first 2 shown]
	v_mul_f16_sdwa v78, v80, v73 dst_sel:DWORD dst_unused:UNUSED_PAD src0_sel:DWORD src1_sel:WORD_1
	v_fma_f16 v78, v18, v73, -v78
	v_mul_f16_sdwa v18, v18, v73 dst_sel:DWORD dst_unused:UNUSED_PAD src0_sel:DWORD src1_sel:WORD_1
	v_sub_f16_e32 v37, v16, v78
	v_fma_f16 v18, v80, v73, v18
	v_sub_f16_e32 v80, v3, v81
	v_fma_f16 v81, v35, 2.0, -v5
	v_fma_f16 v35, v16, 2.0, -v37
	v_mul_lo_u16_e32 v16, 0x44, v25
	v_fma_f16 v3, v3, 2.0, -v80
	v_and_b32_e32 v16, 0xfc, v16
	v_add_lshl_u32 v155, v16, v26, 2
	v_pack_b32_f16 v3, v3, v81
	v_pack_b32_f16 v5, v80, v5
	v_fma_f16 v4, v4, 2.0, -v83
	ds_write2_b32 v155, v3, v5 offset1:34
	v_mul_u32_u24_e32 v3, 0x44, v27
	v_sub_f16_e32 v85, v7, v38
	v_sub_f16_e32 v9, v42, v9
	v_add_lshl_u32 v156, v3, v28, 2
	v_pack_b32_f16 v3, v4, v84
	v_pack_b32_f16 v4, v83, v6
	v_fma_f16 v7, v7, 2.0, -v85
	v_fma_f16 v42, v42, 2.0, -v9
	ds_write2_b32 v156, v3, v4 offset1:34
	v_mad_legacy_u16 v3, v29, s4, v30
	v_sub_f16_e32 v43, v8, v43
	v_sub_f16_e32 v10, v44, v10
	v_lshlrev_b32_e32 v157, 2, v3
	v_pack_b32_f16 v3, v7, v42
	v_pack_b32_f16 v4, v85, v9
	v_fma_f16 v8, v8, 2.0, -v43
	v_fma_f16 v44, v44, 2.0, -v10
	ds_write2_b32 v157, v3, v4 offset1:34
	v_mad_legacy_u16 v3, v31, s4, v19
	v_sub_f16_e32 v45, v11, v45
	v_sub_f16_e32 v13, v46, v13
	v_lshlrev_b32_e32 v158, 2, v3
	;; [unrolled: 9-line block ×4, first 2 shown]
	v_pack_b32_f16 v3, v12, v87
	v_pack_b32_f16 v4, v86, v14
	v_fma_f16 v15, v15, 2.0, -v88
	v_fma_f16 v89, v77, 2.0, -v17
	ds_write2_b32 v160, v3, v4 offset1:34
	v_mad_legacy_u16 v3, v40, s4, v22
	v_sub_f16_e32 v38, v79, v18
	v_lshlrev_b32_e32 v165, 2, v3
	v_pack_b32_f16 v3, v15, v89
	v_pack_b32_f16 v4, v88, v17
	v_fma_f16 v36, v79, 2.0, -v38
	ds_write2_b32 v165, v3, v4 offset1:34
	v_mad_legacy_u16 v3, v41, s4, v23
	v_lshlrev_b32_e32 v166, 2, v3
	v_pack_b32_f16 v3, v35, v36
	v_pack_b32_f16 v4, v37, v38
	ds_write2_b32 v166, v3, v4 offset1:34
	v_add_u32_e32 v3, 0x400, v49
	s_waitcnt lgkmcnt(0)
	s_barrier
	ds_read2_b32 v[14:15], v3 offset0:16 offset1:135
	v_add_u32_e32 v3, 0x800, v49
	ds_read2_b32 v[16:17], v3 offset0:32 offset1:151
	v_add_u32_e32 v3, 0xc00, v49
	;; [unrolled: 2-line block ×4, first 2 shown]
	ds_read2_b32 v[12:13], v49 offset1:119
	ds_read2_b32 v[22:23], v3 offset0:80 offset1:199
	ds_read2_b32 v[31:32], v82 offset0:96 offset1:215
                                        ; implicit-def: $vgpr39
                                        ; implicit-def: $vgpr45
                                        ; implicit-def: $vgpr40
                                        ; implicit-def: $vgpr43
                                        ; implicit-def: $vgpr41
                                        ; implicit-def: $vgpr44
                                        ; implicit-def: $vgpr42
                                        ; implicit-def: $vgpr46
	s_and_saveexec_b64 s[2:3], s[0:1]
	s_cbranch_execz .LBB0_9
; %bb.8:
	ds_read_b32 v35, v49 offset:952
	ds_read_b32 v37, v49 offset:2040
	;; [unrolled: 1-line block ×7, first 2 shown]
	s_waitcnt lgkmcnt(6)
	v_lshrrev_b32_e32 v36, 16, v35
	s_waitcnt lgkmcnt(5)
	v_lshrrev_b32_e32 v38, 16, v37
	;; [unrolled: 2-line block ×7, first 2 shown]
.LBB0_9:
	s_or_b64 exec, exec, s[2:3]
	v_add_u32_e32 v3, 0xffffffbc, v47
	v_cmp_gt_u16_e64 s[2:3], s4, v47
	v_cndmask_b32_e64 v91, v3, v47, s[2:3]
	v_mul_i32_i24_e32 v4, 24, v91
	v_mul_hi_i32_i24_e32 v3, 24, v91
	v_mov_b32_e32 v25, s15
	v_add_co_u32_e64 v8, s[2:3], s14, v4
	v_addc_co_u32_e64 v9, s[2:3], v25, v3, s[2:3]
	s_movk_i32 s2, 0x79
	v_mul_lo_u16_sdwa v3, v2, s2 dst_sel:DWORD dst_unused:UNUSED_PAD src0_sel:BYTE_0 src1_sel:DWORD
	v_lshrrev_b16_e32 v92, 13, v3
	v_mul_lo_u16_e32 v3, 0x44, v92
	v_sub_u16_e32 v2, v2, v3
	v_and_b32_e32 v95, 0xff, v2
	v_lshrrev_b32_e32 v1, 22, v1
	v_mad_u64_u32 v[2:3], s[2:3], v95, 24, s[14:15]
	v_mul_lo_u16_e32 v1, 0x44, v1
	v_sub_u16_e32 v96, v0, v1
	v_mul_lo_u16_e32 v0, 24, v96
	global_load_dwordx4 v[4:7], v[8:9], off offset:204
	global_load_dwordx2 v[27:28], v[8:9], off offset:220
	v_add_co_u32_e64 v82, s[2:3], s14, v0
	global_load_dwordx4 v[8:11], v[2:3], off offset:204
	global_load_dwordx2 v[29:30], v[2:3], off offset:220
	v_addc_co_u32_e64 v83, s[2:3], 0, v25, s[2:3]
	global_load_dwordx4 v[0:3], v[82:83], off offset:204
	global_load_dwordx2 v[25:26], v[82:83], off offset:220
	s_waitcnt lgkmcnt(6)
	v_lshrrev_b32_e32 v82, 16, v14
	v_lshrrev_b32_e32 v88, 16, v15
	s_waitcnt lgkmcnt(5)
	v_lshrrev_b32_e32 v83, 16, v16
	s_waitcnt lgkmcnt(1)
	;; [unrolled: 2-line block ×3, first 2 shown]
	v_lshrrev_b32_e32 v87, 16, v31
	v_lshrrev_b32_e32 v84, 16, v18
	;; [unrolled: 1-line block ×8, first 2 shown]
	s_movk_i32 s2, 0x2b26
	s_movk_i32 s3, 0x3b00
	s_mov_b32 s4, 0xbcab
	s_movk_i32 s5, 0x39e0
	s_mov_b32 s16, 0xb9e0
	;; [unrolled: 2-line block ×3, first 2 shown]
	s_movk_i32 s19, 0x370e
	s_waitcnt vmcnt(0)
	s_barrier
	v_lshlrev_b32_e32 v167, 2, v96
	v_mul_f16_sdwa v98, v82, v4 dst_sel:DWORD dst_unused:UNUSED_PAD src0_sel:DWORD src1_sel:WORD_1
	v_mul_f16_sdwa v99, v14, v4 dst_sel:DWORD dst_unused:UNUSED_PAD src0_sel:DWORD src1_sel:WORD_1
	v_fma_f16 v14, v14, v4, -v98
	v_mul_f16_sdwa v98, v88, v8 dst_sel:DWORD dst_unused:UNUSED_PAD src0_sel:DWORD src1_sel:WORD_1
	v_fma_f16 v82, v82, v4, v99
	v_mul_f16_sdwa v99, v15, v8 dst_sel:DWORD dst_unused:UNUSED_PAD src0_sel:DWORD src1_sel:WORD_1
	v_fma_f16 v15, v15, v8, -v98
	v_mul_f16_sdwa v98, v38, v0 dst_sel:DWORD dst_unused:UNUSED_PAD src0_sel:DWORD src1_sel:WORD_1
	v_fma_f16 v98, v37, v0, -v98
	v_mul_f16_sdwa v37, v37, v0 dst_sel:DWORD dst_unused:UNUSED_PAD src0_sel:DWORD src1_sel:WORD_1
	v_fma_f16 v37, v38, v0, v37
	v_mul_f16_sdwa v38, v34, v1 dst_sel:DWORD dst_unused:UNUSED_PAD src0_sel:DWORD src1_sel:WORD_1
	v_fma_f16 v38, v33, v1, -v38
	v_mul_f16_sdwa v33, v33, v1 dst_sel:DWORD dst_unused:UNUSED_PAD src0_sel:DWORD src1_sel:WORD_1
	v_fma_f16 v33, v34, v1, v33
	;; [unrolled: 4-line block ×4, first 2 shown]
	v_mul_f16_sdwa v46, v43, v25 dst_sel:DWORD dst_unused:UNUSED_PAD src0_sel:DWORD src1_sel:WORD_1
	v_fma_f16 v46, v40, v25, -v46
	v_mul_f16_sdwa v40, v40, v25 dst_sel:DWORD dst_unused:UNUSED_PAD src0_sel:DWORD src1_sel:WORD_1
	v_mul_f16_sdwa v100, v83, v5 dst_sel:DWORD dst_unused:UNUSED_PAD src0_sel:DWORD src1_sel:WORD_1
	;; [unrolled: 1-line block ×7, first 2 shown]
	v_fma_f16 v40, v43, v25, v40
	v_mul_f16_sdwa v43, v44, v26 dst_sel:DWORD dst_unused:UNUSED_PAD src0_sel:DWORD src1_sel:WORD_1
	v_mul_f16_sdwa v102, v84, v6 dst_sel:DWORD dst_unused:UNUSED_PAD src0_sel:DWORD src1_sel:WORD_1
	;; [unrolled: 1-line block ×5, first 2 shown]
	v_fma_f16 v16, v16, v5, -v100
	v_fma_f16 v83, v83, v5, v101
	v_fma_f16 v22, v22, v27, -v106
	v_fma_f16 v86, v86, v27, v107
	;; [unrolled: 2-line block ×3, first 2 shown]
	v_fma_f16 v43, v41, v26, -v43
	v_mul_f16_sdwa v41, v41, v26 dst_sel:DWORD dst_unused:UNUSED_PAD src0_sel:DWORD src1_sel:WORD_1
	v_fma_f16 v18, v18, v6, -v102
	v_fma_f16 v84, v84, v6, v103
	v_fma_f16 v20, v20, v7, -v104
	v_fma_f16 v85, v85, v7, v105
	v_fma_f16 v88, v88, v8, v99
	;; [unrolled: 1-line block ×3, first 2 shown]
	v_add_f16_e32 v44, v14, v31
	v_add_f16_e32 v99, v82, v87
	v_sub_f16_e32 v14, v14, v31
	v_sub_f16_e32 v31, v82, v87
	v_add_f16_e32 v82, v16, v22
	v_add_f16_e32 v87, v83, v86
	v_mul_f16_sdwa v100, v89, v9 dst_sel:DWORD dst_unused:UNUSED_PAD src0_sel:DWORD src1_sel:WORD_1
	v_mul_f16_sdwa v101, v17, v9 dst_sel:DWORD dst_unused:UNUSED_PAD src0_sel:DWORD src1_sel:WORD_1
	;; [unrolled: 1-line block ×6, first 2 shown]
	v_sub_f16_e32 v16, v16, v22
	v_sub_f16_e32 v22, v83, v86
	v_add_f16_e32 v83, v18, v20
	v_add_f16_e32 v86, v84, v85
	v_sub_f16_e32 v18, v20, v18
	v_sub_f16_e32 v20, v85, v84
	v_add_f16_e32 v84, v82, v44
	v_add_f16_e32 v85, v87, v99
	v_mul_f16_sdwa v106, v94, v29 dst_sel:DWORD dst_unused:UNUSED_PAD src0_sel:DWORD src1_sel:WORD_1
	v_fma_f16 v17, v17, v9, -v100
	v_fma_f16 v89, v89, v9, v101
	v_fma_f16 v19, v19, v10, -v102
	v_fma_f16 v90, v90, v10, v103
	;; [unrolled: 2-line block ×3, first 2 shown]
	v_sub_f16_e32 v100, v82, v44
	v_sub_f16_e32 v101, v87, v99
	v_sub_f16_e32 v44, v44, v83
	v_sub_f16_e32 v99, v99, v86
	v_sub_f16_e32 v82, v83, v82
	v_sub_f16_e32 v87, v86, v87
	v_add_f16_e32 v102, v18, v16
	v_add_f16_e32 v103, v20, v22
	v_sub_f16_e32 v104, v18, v16
	v_sub_f16_e32 v105, v20, v22
	;; [unrolled: 1-line block ×4, first 2 shown]
	v_add_f16_e32 v83, v83, v84
	v_add_f16_e32 v84, v86, v85
	v_mul_f16_sdwa v107, v23, v29 dst_sel:DWORD dst_unused:UNUSED_PAD src0_sel:DWORD src1_sel:WORD_1
	v_fma_f16 v23, v23, v29, -v106
	v_sub_f16_e32 v18, v14, v18
	v_sub_f16_e32 v20, v31, v20
	v_add_f16_e32 v14, v102, v14
	v_add_f16_e32 v31, v103, v31
	;; [unrolled: 1-line block ×3, first 2 shown]
	v_add_f16_sdwa v103, v12, v84 dst_sel:DWORD dst_unused:UNUSED_PAD src0_sel:WORD_1 src1_sel:DWORD
	v_mul_f16_e32 v12, 0x3a52, v44
	v_mul_f16_e32 v44, 0x3a52, v99
	;; [unrolled: 1-line block ×8, first 2 shown]
	v_mul_f16_sdwa v108, v97, v30 dst_sel:DWORD dst_unused:UNUSED_PAD src0_sel:DWORD src1_sel:WORD_1
	v_mul_f16_sdwa v109, v32, v30 dst_sel:DWORD dst_unused:UNUSED_PAD src0_sel:DWORD src1_sel:WORD_1
	v_fma_f16 v83, v83, s4, v102
	v_fma_f16 v84, v84, s4, v103
	v_fma_f16 v82, v82, s2, v12
	v_fma_f16 v87, v87, s2, v44
	v_fma_f16 v85, v100, s5, -v85
	v_fma_f16 v86, v101, s5, -v86
	;; [unrolled: 1-line block ×4, first 2 shown]
	v_fma_f16 v100, v18, s17, v99
	v_fma_f16 v101, v20, s17, v104
	v_fma_f16 v16, v16, s3, -v99
	v_fma_f16 v18, v18, s18, -v105
	v_fma_f16 v20, v20, s18, -v106
	v_fma_f16 v94, v94, v29, v107
	v_fma_f16 v32, v32, v30, -v108
	v_fma_f16 v97, v97, v30, v109
	v_fma_f16 v22, v22, s3, -v104
	v_add_f16_e32 v82, v82, v83
	v_add_f16_e32 v87, v87, v84
	v_add_f16_e32 v85, v85, v83
	v_add_f16_e32 v12, v12, v83
	v_add_f16_e32 v44, v44, v84
	v_fma_f16 v83, v14, s19, v100
	v_fma_f16 v16, v14, s19, v16
	;; [unrolled: 1-line block ×4, first 2 shown]
	v_add_f16_e32 v86, v86, v84
	v_fma_f16 v84, v31, s19, v101
	v_fma_f16 v22, v31, s19, v22
	v_sub_f16_e32 v31, v87, v83
	v_add_f16_e32 v99, v18, v12
	v_sub_f16_e32 v100, v44, v14
	v_sub_f16_e32 v18, v12, v18
	v_add_f16_e32 v44, v14, v44
	v_add_f16_e32 v106, v83, v87
	;; [unrolled: 1-line block ×4, first 2 shown]
	v_sub_f16_e32 v15, v15, v32
	v_add_f16_e32 v32, v17, v23
	v_add_f16_e32 v83, v89, v94
	;; [unrolled: 1-line block ×3, first 2 shown]
	v_sub_f16_e32 v101, v85, v22
	v_add_f16_e32 v104, v16, v86
	v_add_f16_e32 v22, v22, v85
	v_sub_f16_e32 v105, v86, v16
	v_sub_f16_e32 v82, v82, v84
	;; [unrolled: 1-line block ×5, first 2 shown]
	v_add_f16_e32 v84, v19, v21
	v_add_f16_e32 v85, v90, v93
	v_sub_f16_e32 v19, v21, v19
	v_sub_f16_e32 v21, v93, v90
	v_add_f16_e32 v86, v32, v12
	v_add_f16_e32 v87, v83, v14
	v_sub_f16_e32 v88, v32, v12
	v_sub_f16_e32 v89, v83, v14
	;; [unrolled: 1-line block ×6, first 2 shown]
	v_add_f16_e32 v90, v19, v17
	v_add_f16_e32 v93, v21, v23
	v_sub_f16_e32 v94, v19, v17
	v_sub_f16_e32 v97, v21, v23
	;; [unrolled: 1-line block ×3, first 2 shown]
	v_add_f16_e32 v84, v84, v86
	v_add_f16_e32 v85, v85, v87
	v_sub_f16_e32 v19, v15, v19
	v_sub_f16_e32 v21, v16, v21
	;; [unrolled: 1-line block ×3, first 2 shown]
	v_add_f16_e32 v15, v90, v15
	v_add_f16_e32 v107, v13, v84
	v_add_f16_sdwa v108, v13, v85 dst_sel:DWORD dst_unused:UNUSED_PAD src0_sel:WORD_1 src1_sel:DWORD
	v_mul_f16_e32 v12, 0x3a52, v12
	v_mul_f16_e32 v13, 0x3a52, v14
	;; [unrolled: 1-line block ×6, first 2 shown]
	v_add_f16_e32 v16, v93, v16
	v_mul_f16_e32 v14, 0x2b26, v32
	v_mul_f16_e32 v93, 0x3b00, v17
	v_fma_f16 v84, v84, s4, v107
	v_fma_f16 v85, v85, s4, v108
	;; [unrolled: 1-line block ×4, first 2 shown]
	v_fma_f16 v86, v89, s5, -v86
	v_fma_f16 v12, v88, s16, -v12
	;; [unrolled: 1-line block ×3, first 2 shown]
	v_fma_f16 v89, v21, s17, v90
	v_fma_f16 v23, v23, s3, -v90
	v_fma_f16 v21, v21, s18, -v94
	;; [unrolled: 1-line block ×3, first 2 shown]
	v_fma_f16 v88, v19, s17, v87
	v_fma_f16 v17, v17, s3, -v87
	v_fma_f16 v19, v19, s18, -v93
	v_add_f16_e32 v83, v83, v85
	v_add_f16_e32 v86, v86, v85
	v_add_f16_e32 v12, v12, v84
	v_add_f16_e32 v13, v13, v85
	v_fma_f16 v85, v16, s19, v89
	v_fma_f16 v23, v16, s19, v23
	;; [unrolled: 1-line block ×3, first 2 shown]
	v_add_f16_e32 v32, v32, v84
	v_add_f16_e32 v14, v14, v84
	v_fma_f16 v84, v15, s19, v88
	v_fma_f16 v17, v15, s19, v17
	;; [unrolled: 1-line block ×3, first 2 shown]
	v_add_f16_e32 v97, v16, v12
	v_sub_f16_e32 v113, v12, v16
	v_add_f16_e32 v12, v98, v43
	v_add_f16_e32 v16, v38, v46
	v_sub_f16_e32 v109, v13, v15
	v_add_f16_e32 v111, v17, v86
	v_sub_f16_e32 v112, v86, v17
	v_add_f16_e32 v114, v15, v13
	v_add_f16_e32 v13, v37, v41
	v_sub_f16_e32 v15, v37, v41
	v_add_f16_e32 v17, v33, v40
	v_sub_f16_e32 v37, v38, v46
	v_sub_f16_e32 v33, v33, v40
	v_add_f16_e32 v38, v34, v45
	v_add_f16_e32 v40, v39, v42
	v_sub_f16_e32 v34, v45, v34
	v_sub_f16_e32 v39, v42, v39
	v_add_f16_e32 v41, v16, v12
	;; [unrolled: 4-line block ×3, first 2 shown]
	v_sub_f16_e32 v32, v32, v85
	v_add_f16_e32 v115, v84, v83
	v_sub_f16_e32 v14, v98, v43
	v_add_f16_e32 v42, v17, v13
	v_sub_f16_e32 v43, v16, v12
	v_sub_f16_e32 v45, v17, v13
	;; [unrolled: 1-line block ×5, first 2 shown]
	v_add_f16_e32 v12, v34, v37
	v_add_f16_e32 v13, v39, v33
	v_sub_f16_e32 v85, v39, v33
	v_add_f16_e32 v38, v38, v41
	v_sub_f16_e32 v17, v40, v17
	v_sub_f16_e32 v39, v15, v39
	;; [unrolled: 1-line block ×3, first 2 shown]
	v_add_f16_e32 v40, v40, v42
	v_add_f16_e32 v41, v12, v14
	;; [unrolled: 1-line block ×4, first 2 shown]
	v_mul_f16_e32 v15, 0x3a52, v83
	v_mul_f16_e32 v35, 0x2b26, v16
	;; [unrolled: 1-line block ×3, first 2 shown]
	v_sub_f16_e32 v84, v34, v37
	v_sub_f16_e32 v34, v14, v34
	;; [unrolled: 1-line block ×3, first 2 shown]
	v_mul_f16_e32 v14, 0x3a52, v46
	v_mul_f16_e32 v85, 0x3b00, v33
	v_fma_f16 v38, v38, s4, v12
	v_fma_f16 v35, v43, s5, -v35
	v_fma_f16 v33, v33, s3, -v83
	v_add_f16_e32 v13, v36, v40
	v_mul_f16_e32 v36, 0x2b26, v17
	v_mul_f16_e32 v46, 0xb846, v84
	;; [unrolled: 1-line block ×3, first 2 shown]
	v_fma_f16 v16, v16, s2, v14
	v_fma_f16 v17, v17, s2, v15
	v_add_f16_e32 v35, v35, v38
	v_fma_f16 v33, v42, s19, v33
	s_movk_i32 s2, 0x43
	v_fma_f16 v86, v34, s17, v46
	v_fma_f16 v37, v37, s3, -v46
	v_fma_f16 v34, v34, s18, -v84
	v_sub_f16_e32 v172, v35, v33
	v_add_f16_e32 v84, v33, v35
	v_mov_b32_e32 v33, 0x1dc
	v_cmp_lt_u16_e64 s[2:3], s2, v47
	v_cndmask_b32_e64 v33, 0, v33, s[2:3]
	v_add_lshl_u32 v91, v91, v33, 2
	v_pack_b32_f16 v33, v102, v103
	v_pack_b32_f16 v20, v20, v31
	ds_write2_b32 v91, v33, v20 offset1:68
	v_pack_b32_f16 v20, v99, v100
	v_pack_b32_f16 v31, v101, v104
	ds_write2_b32 v91, v20, v31 offset0:136 offset1:204
	v_pack_b32_f16 v20, v22, v105
	v_pack_b32_f16 v18, v18, v44
	v_add_u32_e32 v22, 0x400, v91
	ds_write2_b32 v22, v20, v18 offset0:16 offset1:84
	v_pack_b32_f16 v18, v82, v106
	ds_write_b32 v91, v18 offset:1632
	v_mul_u32_u24_e32 v18, 0x1dc, v92
	v_add_lshl_u32 v92, v18, v95, 2
	v_pack_b32_f16 v18, v107, v108
	v_pack_b32_f16 v19, v19, v21
	v_fma_f16 v40, v40, s4, v13
	v_fma_f16 v36, v45, s5, -v36
	v_fma_f16 v43, v43, s16, -v14
	;; [unrolled: 1-line block ×3, first 2 shown]
	v_fma_f16 v87, v39, s17, v83
	v_fma_f16 v39, v39, s18, -v85
	ds_write2_b32 v92, v18, v19 offset1:68
	v_pack_b32_f16 v18, v97, v109
	v_pack_b32_f16 v19, v110, v111
	v_add_f16_e32 v14, v16, v38
	v_add_f16_e32 v15, v17, v40
	;; [unrolled: 1-line block ×5, first 2 shown]
	v_fma_f16 v16, v41, s19, v86
	v_fma_f16 v17, v42, s19, v87
	;; [unrolled: 1-line block ×5, first 2 shown]
	ds_write2_b32 v92, v18, v19 offset0:136 offset1:204
	v_pack_b32_f16 v18, v23, v112
	v_pack_b32_f16 v19, v113, v114
	v_add_u32_e32 v20, 0x400, v92
	v_add_f16_e32 v94, v39, v38
	v_sub_f16_e32 v93, v40, v34
	v_add_f16_e32 v168, v37, v36
	v_sub_f16_e32 v170, v36, v37
	v_sub_f16_e32 v85, v38, v39
	v_add_f16_e32 v86, v34, v40
	v_sub_f16_e32 v89, v14, v17
	v_add_f16_e32 v171, v16, v15
	ds_write2_b32 v20, v18, v19 offset0:16 offset1:84
	v_pack_b32_f16 v18, v32, v115
	ds_write_b32 v92, v18 offset:1632
	s_and_saveexec_b64 s[2:3], s[0:1]
	s_cbranch_execz .LBB0_11
; %bb.10:
	v_sub_f16_e32 v15, v15, v16
	v_add_f16_e32 v14, v17, v14
	s_mov_b32 s4, 0x5040100
	v_perm_b32 v12, v13, v12, s4
	v_pack_b32_f16 v13, v14, v15
	v_add_u32_e32 v14, 0x1400, v167
	ds_write2_b32 v14, v12, v13 offset0:148 offset1:216
	v_perm_b32 v12, v93, v94, s4
	v_perm_b32 v13, v168, v172, s4
	v_add_u32_e32 v14, 0x1800, v167
	ds_write2_b32 v14, v12, v13 offset0:28 offset1:96
	v_perm_b32 v12, v170, v84, s4
	v_perm_b32 v13, v86, v85, s4
	ds_write2_b32 v14, v12, v13 offset0:164 offset1:232
	v_perm_b32 v12, v171, v89, s4
	ds_write_b32 v167, v12 offset:7344
.LBB0_11:
	s_or_b64 exec, exec, s[2:3]
	v_mad_u64_u32 v[40:41], s[2:3], v47, 12, s[14:15]
	s_waitcnt lgkmcnt(0)
	s_barrier
	global_load_dwordx3 v[12:14], v[40:41], off offset:1836
	v_add_u32_e32 v105, 0x600, v49
	ds_read2_b32 v[17:18], v105 offset0:92 offset1:211
	v_add_u32_e32 v108, 0xe00, v49
	ds_read2_b32 v[19:20], v108 offset0:56 offset1:175
	;; [unrolled: 2-line block ×3, first 2 shown]
	s_waitcnt lgkmcnt(2)
	v_lshrrev_b32_e32 v15, 16, v17
	v_lshrrev_b32_e32 v45, 16, v18
	s_waitcnt lgkmcnt(1)
	v_lshrrev_b32_e32 v16, 16, v19
	v_lshrrev_b32_e32 v46, 16, v20
	;; [unrolled: 3-line block ×3, first 2 shown]
	s_movk_i32 s16, 0x1000
	v_add_u32_e32 v115, 0xa00, v49
	ds_read2_b32 v[31:32], v115 offset0:74 offset1:193
	v_add_u32_e32 v116, 0x1200, v49
	ds_read2_b32 v[36:37], v116 offset0:38 offset1:157
	;; [unrolled: 2-line block ×3, first 2 shown]
	s_waitcnt lgkmcnt(2)
	v_lshrrev_b32_e32 v96, 16, v31
	ds_read2_b32 v[34:35], v49 offset1:119
	s_waitcnt lgkmcnt(2)
	v_lshrrev_b32_e32 v97, 16, v36
	v_lshrrev_b32_e32 v99, 16, v32
	s_waitcnt lgkmcnt(1)
	v_lshrrev_b32_e32 v98, 16, v38
	v_lshrrev_b32_e32 v100, 16, v37
	v_add_u32_e32 v114, 0x200, v49
	ds_read2_b32 v[42:43], v114 offset0:110 offset1:229
	v_lshrrev_b32_e32 v101, 16, v39
	s_waitcnt lgkmcnt(1)
	v_lshrrev_b32_e32 v33, 16, v34
	v_lshrrev_b32_e32 v44, 16, v35
	s_waitcnt lgkmcnt(0)
	v_lshrrev_b32_e32 v103, 16, v42
	v_lshrrev_b32_e32 v109, 16, v43
	s_waitcnt vmcnt(0)
	v_mul_f16_sdwa v102, v15, v12 dst_sel:DWORD dst_unused:UNUSED_PAD src0_sel:DWORD src1_sel:WORD_1
	v_fma_f16 v102, v17, v12, -v102
	v_mul_f16_sdwa v17, v17, v12 dst_sel:DWORD dst_unused:UNUSED_PAD src0_sel:DWORD src1_sel:WORD_1
	v_fma_f16 v104, v15, v12, v17
	v_mul_f16_sdwa v15, v16, v13 dst_sel:DWORD dst_unused:UNUSED_PAD src0_sel:DWORD src1_sel:WORD_1
	v_fma_f16 v106, v19, v13, -v15
	v_mul_f16_sdwa v15, v19, v13 dst_sel:DWORD dst_unused:UNUSED_PAD src0_sel:DWORD src1_sel:WORD_1
	v_fma_f16 v107, v16, v13, v15
	;; [unrolled: 4-line block ×3, first 2 shown]
	global_load_dwordx3 v[15:17], v[40:41], off offset:3264
	v_add_co_u32_e64 v21, s[2:3], s16, v40
	s_waitcnt vmcnt(0)
	v_mul_f16_sdwa v19, v45, v15 dst_sel:DWORD dst_unused:UNUSED_PAD src0_sel:DWORD src1_sel:WORD_1
	v_fma_f16 v112, v18, v15, -v19
	v_mul_f16_sdwa v18, v18, v15 dst_sel:DWORD dst_unused:UNUSED_PAD src0_sel:DWORD src1_sel:WORD_1
	v_fma_f16 v45, v45, v15, v18
	v_mul_f16_sdwa v18, v46, v16 dst_sel:DWORD dst_unused:UNUSED_PAD src0_sel:DWORD src1_sel:WORD_1
	v_fma_f16 v118, v20, v16, -v18
	v_mul_f16_sdwa v18, v20, v16 dst_sel:DWORD dst_unused:UNUSED_PAD src0_sel:DWORD src1_sel:WORD_1
	v_fma_f16 v46, v46, v16, v18
	v_mul_f16_sdwa v18, v95, v17 dst_sel:DWORD dst_unused:UNUSED_PAD src0_sel:DWORD src1_sel:WORD_1
	v_fma_f16 v119, v22, v17, -v18
	v_mul_f16_sdwa v18, v22, v17 dst_sel:DWORD dst_unused:UNUSED_PAD src0_sel:DWORD src1_sel:WORD_1
	v_addc_co_u32_e64 v22, s[2:3], 0, v41, s[2:3]
	v_fma_f16 v120, v95, v17, v18
	global_load_dwordx3 v[18:20], v[21:22], off offset:596
	s_waitcnt vmcnt(0)
	v_mul_f16_sdwa v23, v96, v18 dst_sel:DWORD dst_unused:UNUSED_PAD src0_sel:DWORD src1_sel:WORD_1
	v_fma_f16 v40, v31, v18, -v23
	v_mul_f16_sdwa v23, v31, v18 dst_sel:DWORD dst_unused:UNUSED_PAD src0_sel:DWORD src1_sel:WORD_1
	v_fma_f16 v41, v96, v18, v23
	v_mul_f16_sdwa v23, v97, v19 dst_sel:DWORD dst_unused:UNUSED_PAD src0_sel:DWORD src1_sel:WORD_1
	v_fma_f16 v121, v36, v19, -v23
	v_mul_f16_sdwa v23, v36, v19 dst_sel:DWORD dst_unused:UNUSED_PAD src0_sel:DWORD src1_sel:WORD_1
	v_fma_f16 v122, v97, v19, v23
	;; [unrolled: 4-line block ×3, first 2 shown]
	global_load_dwordx3 v[21:23], v[21:22], off offset:2024
	v_sub_f16_e32 v36, v33, v107
	v_sub_f16_e32 v38, v104, v111
	s_waitcnt vmcnt(0)
	v_mul_f16_sdwa v31, v99, v21 dst_sel:DWORD dst_unused:UNUSED_PAD src0_sel:DWORD src1_sel:WORD_1
	v_fma_f16 v125, v32, v21, -v31
	v_mul_f16_sdwa v31, v32, v21 dst_sel:DWORD dst_unused:UNUSED_PAD src0_sel:DWORD src1_sel:WORD_1
	v_fma_f16 v126, v99, v21, v31
	v_mul_f16_sdwa v31, v100, v22 dst_sel:DWORD dst_unused:UNUSED_PAD src0_sel:DWORD src1_sel:WORD_1
	v_fma_f16 v127, v37, v22, -v31
	v_mul_f16_sdwa v31, v37, v22 dst_sel:DWORD dst_unused:UNUSED_PAD src0_sel:DWORD src1_sel:WORD_1
	v_fma_f16 v128, v100, v22, v31
	v_mul_f16_sdwa v31, v101, v23 dst_sel:DWORD dst_unused:UNUSED_PAD src0_sel:DWORD src1_sel:WORD_1
	v_fma_f16 v129, v39, v23, -v31
	v_mul_f16_sdwa v31, v39, v23 dst_sel:DWORD dst_unused:UNUSED_PAD src0_sel:DWORD src1_sel:WORD_1
	v_sub_f16_e32 v32, v34, v106
	v_fma_f16 v130, v101, v23, v31
	v_fma_f16 v31, v34, 2.0, -v32
	v_fma_f16 v34, v33, 2.0, -v36
	;; [unrolled: 1-line block ×3, first 2 shown]
	v_sub_f16_e32 v95, v34, v39
	v_sub_f16_e32 v39, v44, v46
	;; [unrolled: 1-line block ×4, first 2 shown]
	v_fma_f16 v96, v34, 2.0, -v95
	v_sub_f16_e32 v34, v32, v38
	v_fma_f16 v38, v44, 2.0, -v39
	v_sub_f16_e32 v44, v112, v119
	v_fma_f16 v45, v45, 2.0, -v46
	v_fma_f16 v33, v102, 2.0, -v37
	v_add_f16_e32 v97, v36, v37
	v_fma_f16 v37, v112, 2.0, -v44
	v_sub_f16_e32 v101, v38, v45
	v_add_f16_e32 v102, v39, v44
	v_sub_f16_e32 v44, v42, v121
	v_sub_f16_e32 v45, v103, v122
	;; [unrolled: 1-line block ×3, first 2 shown]
	v_fma_f16 v98, v36, 2.0, -v97
	v_sub_f16_e32 v36, v35, v118
	v_fma_f16 v100, v39, 2.0, -v102
	v_fma_f16 v39, v42, 2.0, -v44
	;; [unrolled: 1-line block ×6, first 2 shown]
	v_sub_f16_e32 v38, v36, v46
	v_sub_f16_e32 v46, v40, v123
	;; [unrolled: 1-line block ×7, first 2 shown]
	v_fma_f16 v40, v40, 2.0, -v46
	v_fma_f16 v104, v42, 2.0, -v103
	v_sub_f16_e32 v42, v44, v106
	v_add_f16_e32 v107, v45, v46
	v_fma_f16 v46, v109, 2.0, -v112
	v_fma_f16 v109, v126, 2.0, -v118
	;; [unrolled: 1-line block ×4, first 2 shown]
	v_sub_f16_e32 v41, v39, v40
	v_fma_f16 v40, v44, 2.0, -v42
	v_sub_f16_e32 v44, v43, v127
	v_sub_f16_e32 v109, v46, v109
	v_fma_f16 v32, v32, 2.0, -v34
	v_fma_f16 v36, v36, 2.0, -v38
	v_sub_f16_e32 v111, v125, v129
	v_fma_f16 v110, v46, 2.0, -v109
	v_sub_f16_e32 v46, v44, v118
	v_pack_b32_f16 v118, v31, v96
	v_pack_b32_f16 v122, v35, v99
	v_fma_f16 v106, v45, 2.0, -v107
	v_fma_f16 v43, v43, 2.0, -v44
	;; [unrolled: 1-line block ×3, first 2 shown]
	v_pack_b32_f16 v119, v32, v98
	ds_write2_b32 v49, v118, v122 offset1:119
	v_pack_b32_f16 v118, v36, v100
	v_sub_f16_e32 v45, v43, v45
	v_pack_b32_f16 v120, v33, v95
	ds_write2_b32 v105, v119, v118 offset0:92 offset1:211
	v_pack_b32_f16 v105, v37, v101
	v_fma_f16 v39, v39, 2.0, -v41
	v_fma_f16 v43, v43, 2.0, -v45
	v_add_f16_e32 v111, v112, v111
	v_pack_b32_f16 v121, v34, v97
	ds_write2_b32 v108, v120, v105 offset0:56 offset1:175
	v_pack_b32_f16 v105, v38, v102
	v_fma_f16 v44, v44, 2.0, -v46
	v_fma_f16 v112, v112, 2.0, -v111
	ds_write2_b32 v113, v121, v105 offset0:20 offset1:139
	v_pack_b32_f16 v105, v39, v104
	v_pack_b32_f16 v119, v43, v110
	;; [unrolled: 1-line block ×3, first 2 shown]
	ds_write2_b32 v114, v105, v119 offset0:110 offset1:229
	v_pack_b32_f16 v105, v44, v112
	v_pack_b32_f16 v113, v41, v103
	ds_write2_b32 v115, v108, v105 offset0:74 offset1:193
	v_pack_b32_f16 v105, v45, v109
	v_pack_b32_f16 v118, v42, v107
	ds_write2_b32 v116, v113, v105 offset0:38 offset1:157
	v_pack_b32_f16 v105, v46, v111
	ds_write2_b32 v117, v118, v105 offset0:130 offset1:249
	s_waitcnt lgkmcnt(0)
	s_barrier
	s_and_saveexec_b64 s[4:5], vcc
	s_cbranch_execz .LBB0_13
; %bb.12:
	s_add_u32 s14, s6, 0x1dc0
	s_addc_u32 s15, s7, 0
	v_add_co_u32_e64 v115, s[2:3], s14, v48
	v_mov_b32_e32 v113, s15
	v_addc_co_u32_e64 v116, s[2:3], 0, v113, s[2:3]
	global_load_dword v113, v48, s[14:15]
	ds_read_b32 v105, v49
	v_add_co_u32_e64 v115, s[2:3], s16, v115
	v_addc_co_u32_e64 v116, s[2:3], 0, v116, s[2:3]
	s_waitcnt lgkmcnt(0)
	v_lshrrev_b32_e32 v108, 16, v105
	s_waitcnt vmcnt(0)
	v_mul_f16_sdwa v114, v108, v113 dst_sel:DWORD dst_unused:UNUSED_PAD src0_sel:DWORD src1_sel:WORD_1
	v_fma_f16 v114, v105, v113, -v114
	v_mul_f16_sdwa v105, v105, v113 dst_sel:DWORD dst_unused:UNUSED_PAD src0_sel:DWORD src1_sel:WORD_1
	v_fma_f16 v105, v108, v113, v105
	global_load_dword v108, v48, s[14:15] offset:448
	v_pack_b32_f16 v105, v114, v105
	ds_write_b32 v49, v105
	ds_read2_b32 v[113:114], v48 offset0:112 offset1:224
	s_waitcnt lgkmcnt(0)
	v_lshrrev_b32_e32 v105, 16, v113
	s_waitcnt vmcnt(0)
	v_mul_f16_sdwa v117, v105, v108 dst_sel:DWORD dst_unused:UNUSED_PAD src0_sel:DWORD src1_sel:WORD_1
	v_fma_f16 v117, v113, v108, -v117
	v_mul_f16_sdwa v113, v113, v108 dst_sel:DWORD dst_unused:UNUSED_PAD src0_sel:DWORD src1_sel:WORD_1
	v_fma_f16 v105, v105, v108, v113
	global_load_dword v113, v48, s[14:15] offset:896
	v_lshrrev_b32_e32 v108, 16, v114
	v_pack_b32_f16 v105, v117, v105
	s_waitcnt vmcnt(0)
	v_mul_f16_sdwa v117, v108, v113 dst_sel:DWORD dst_unused:UNUSED_PAD src0_sel:DWORD src1_sel:WORD_1
	v_fma_f16 v117, v114, v113, -v117
	v_mul_f16_sdwa v114, v114, v113 dst_sel:DWORD dst_unused:UNUSED_PAD src0_sel:DWORD src1_sel:WORD_1
	v_fma_f16 v108, v108, v113, v114
	v_pack_b32_f16 v108, v117, v108
	global_load_dword v117, v48, s[14:15] offset:1344
	ds_write2_b32 v48, v105, v108 offset0:112 offset1:224
	v_add_u32_e32 v105, 0x400, v48
	ds_read2_b32 v[113:114], v105 offset0:80 offset1:192
	s_waitcnt lgkmcnt(0)
	v_lshrrev_b32_e32 v108, 16, v113
	s_waitcnt vmcnt(0)
	v_mul_f16_sdwa v118, v108, v117 dst_sel:DWORD dst_unused:UNUSED_PAD src0_sel:DWORD src1_sel:WORD_1
	v_fma_f16 v118, v113, v117, -v118
	v_mul_f16_sdwa v113, v113, v117 dst_sel:DWORD dst_unused:UNUSED_PAD src0_sel:DWORD src1_sel:WORD_1
	v_fma_f16 v108, v108, v117, v113
	global_load_dword v117, v48, s[14:15] offset:1792
	v_lshrrev_b32_e32 v113, 16, v114
	v_pack_b32_f16 v108, v118, v108
	s_waitcnt vmcnt(0)
	v_mul_f16_sdwa v118, v113, v117 dst_sel:DWORD dst_unused:UNUSED_PAD src0_sel:DWORD src1_sel:WORD_1
	v_fma_f16 v118, v114, v117, -v118
	v_mul_f16_sdwa v114, v114, v117 dst_sel:DWORD dst_unused:UNUSED_PAD src0_sel:DWORD src1_sel:WORD_1
	v_fma_f16 v113, v113, v117, v114
	global_load_dword v117, v48, s[14:15] offset:2240
	v_pack_b32_f16 v113, v118, v113
	ds_write2_b32 v105, v108, v113 offset0:80 offset1:192
	v_add_u32_e32 v105, 0x800, v48
	ds_read2_b32 v[113:114], v105 offset0:48 offset1:160
	s_waitcnt lgkmcnt(0)
	v_lshrrev_b32_e32 v108, 16, v113
	s_waitcnt vmcnt(0)
	v_mul_f16_sdwa v118, v108, v117 dst_sel:DWORD dst_unused:UNUSED_PAD src0_sel:DWORD src1_sel:WORD_1
	v_fma_f16 v118, v113, v117, -v118
	v_mul_f16_sdwa v113, v113, v117 dst_sel:DWORD dst_unused:UNUSED_PAD src0_sel:DWORD src1_sel:WORD_1
	v_fma_f16 v108, v108, v117, v113
	global_load_dword v117, v48, s[14:15] offset:2688
	v_lshrrev_b32_e32 v113, 16, v114
	v_pack_b32_f16 v108, v118, v108
	s_waitcnt vmcnt(0)
	v_mul_f16_sdwa v118, v113, v117 dst_sel:DWORD dst_unused:UNUSED_PAD src0_sel:DWORD src1_sel:WORD_1
	v_fma_f16 v118, v114, v117, -v118
	v_mul_f16_sdwa v114, v114, v117 dst_sel:DWORD dst_unused:UNUSED_PAD src0_sel:DWORD src1_sel:WORD_1
	v_fma_f16 v113, v113, v117, v114
	global_load_dword v117, v48, s[14:15] offset:3136
	v_pack_b32_f16 v113, v118, v113
	;; [unrolled: 20-line block ×3, first 2 shown]
	ds_write2_b32 v105, v108, v113 offset0:16 offset1:128
	v_add_u32_e32 v105, 0xe00, v48
	ds_read2_b32 v[113:114], v105 offset0:112 offset1:224
	s_waitcnt lgkmcnt(0)
	v_lshrrev_b32_e32 v108, 16, v113
	s_waitcnt vmcnt(0)
	v_mul_f16_sdwa v118, v108, v117 dst_sel:DWORD dst_unused:UNUSED_PAD src0_sel:DWORD src1_sel:WORD_1
	v_fma_f16 v118, v113, v117, -v118
	v_mul_f16_sdwa v113, v113, v117 dst_sel:DWORD dst_unused:UNUSED_PAD src0_sel:DWORD src1_sel:WORD_1
	v_fma_f16 v108, v108, v117, v113
	global_load_dword v117, v[115:116], off offset:384
	v_lshrrev_b32_e32 v113, 16, v114
	v_pack_b32_f16 v108, v118, v108
	s_waitcnt vmcnt(0)
	v_mul_f16_sdwa v118, v113, v117 dst_sel:DWORD dst_unused:UNUSED_PAD src0_sel:DWORD src1_sel:WORD_1
	v_fma_f16 v118, v114, v117, -v118
	v_mul_f16_sdwa v114, v114, v117 dst_sel:DWORD dst_unused:UNUSED_PAD src0_sel:DWORD src1_sel:WORD_1
	v_fma_f16 v113, v113, v117, v114
	global_load_dword v117, v[115:116], off offset:832
	v_pack_b32_f16 v113, v118, v113
	ds_write2_b32 v105, v108, v113 offset0:112 offset1:224
	v_add_u32_e32 v105, 0x1200, v48
	ds_read2_b32 v[113:114], v105 offset0:80 offset1:192
	s_waitcnt lgkmcnt(0)
	v_lshrrev_b32_e32 v108, 16, v113
	s_waitcnt vmcnt(0)
	v_mul_f16_sdwa v118, v108, v117 dst_sel:DWORD dst_unused:UNUSED_PAD src0_sel:DWORD src1_sel:WORD_1
	v_fma_f16 v118, v113, v117, -v118
	v_mul_f16_sdwa v113, v113, v117 dst_sel:DWORD dst_unused:UNUSED_PAD src0_sel:DWORD src1_sel:WORD_1
	v_fma_f16 v108, v108, v117, v113
	global_load_dword v117, v[115:116], off offset:1280
	v_lshrrev_b32_e32 v113, 16, v114
	v_pack_b32_f16 v108, v118, v108
	s_waitcnt vmcnt(0)
	v_mul_f16_sdwa v118, v113, v117 dst_sel:DWORD dst_unused:UNUSED_PAD src0_sel:DWORD src1_sel:WORD_1
	v_fma_f16 v118, v114, v117, -v118
	v_mul_f16_sdwa v114, v114, v117 dst_sel:DWORD dst_unused:UNUSED_PAD src0_sel:DWORD src1_sel:WORD_1
	v_fma_f16 v113, v113, v117, v114
	global_load_dword v117, v[115:116], off offset:1728
	v_pack_b32_f16 v113, v118, v113
	ds_write2_b32 v105, v108, v113 offset0:80 offset1:192
	v_add_u32_e32 v105, 0x1600, v48
	ds_read2_b32 v[113:114], v105 offset0:48 offset1:160
	s_waitcnt lgkmcnt(0)
	v_lshrrev_b32_e32 v108, 16, v113
	s_waitcnt vmcnt(0)
	v_mul_f16_sdwa v118, v108, v117 dst_sel:DWORD dst_unused:UNUSED_PAD src0_sel:DWORD src1_sel:WORD_1
	v_fma_f16 v118, v113, v117, -v118
	v_mul_f16_sdwa v113, v113, v117 dst_sel:DWORD dst_unused:UNUSED_PAD src0_sel:DWORD src1_sel:WORD_1
	v_fma_f16 v108, v108, v117, v113
	global_load_dword v117, v[115:116], off offset:2176
	v_lshrrev_b32_e32 v113, 16, v114
	global_load_dword v115, v[115:116], off offset:2624
	v_pack_b32_f16 v108, v118, v108
	s_waitcnt vmcnt(1)
	v_mul_f16_sdwa v118, v113, v117 dst_sel:DWORD dst_unused:UNUSED_PAD src0_sel:DWORD src1_sel:WORD_1
	v_fma_f16 v118, v114, v117, -v118
	v_mul_f16_sdwa v114, v114, v117 dst_sel:DWORD dst_unused:UNUSED_PAD src0_sel:DWORD src1_sel:WORD_1
	v_fma_f16 v113, v113, v117, v114
	v_pack_b32_f16 v113, v118, v113
	ds_write2_b32 v105, v108, v113 offset0:48 offset1:160
	v_add_u32_e32 v105, 0x1a00, v48
	ds_read2_b32 v[113:114], v105 offset0:16 offset1:128
	s_waitcnt lgkmcnt(0)
	v_lshrrev_b32_e32 v108, 16, v113
	s_waitcnt vmcnt(0)
	v_mul_f16_sdwa v116, v108, v115 dst_sel:DWORD dst_unused:UNUSED_PAD src0_sel:DWORD src1_sel:WORD_1
	v_fma_f16 v116, v113, v115, -v116
	v_mul_f16_sdwa v113, v113, v115 dst_sel:DWORD dst_unused:UNUSED_PAD src0_sel:DWORD src1_sel:WORD_1
	v_fma_f16 v108, v108, v115, v113
	v_or_b32_e32 v115, 0x1c00, v48
	global_load_dword v115, v115, s[14:15]
	v_lshrrev_b32_e32 v113, 16, v114
	v_pack_b32_f16 v108, v116, v108
	s_waitcnt vmcnt(0)
	v_mul_f16_sdwa v116, v113, v115 dst_sel:DWORD dst_unused:UNUSED_PAD src0_sel:DWORD src1_sel:WORD_1
	v_fma_f16 v116, v114, v115, -v116
	v_mul_f16_sdwa v114, v114, v115 dst_sel:DWORD dst_unused:UNUSED_PAD src0_sel:DWORD src1_sel:WORD_1
	v_fma_f16 v113, v113, v115, v114
	v_pack_b32_f16 v113, v116, v113
	ds_write2_b32 v105, v108, v113 offset0:16 offset1:128
.LBB0_13:
	s_or_b64 exec, exec, s[4:5]
	s_waitcnt lgkmcnt(0)
	s_barrier
	s_and_saveexec_b64 s[2:3], vcc
	s_cbranch_execz .LBB0_15
; %bb.14:
	v_add_u32_e32 v33, 0x200, v49
	v_add_u32_e32 v35, 0x600, v49
	;; [unrolled: 1-line block ×7, first 2 shown]
	ds_read2_b32 v[31:32], v49 offset1:112
	ds_read2_b32 v[33:34], v33 offset0:96 offset1:208
	ds_read2_b32 v[35:36], v35 offset0:64 offset1:176
	;; [unrolled: 1-line block ×7, first 2 shown]
	ds_read_b32 v94, v49 offset:7168
	s_waitcnt lgkmcnt(8)
	v_lshrrev_b32_e32 v96, 16, v31
	v_lshrrev_b32_e32 v98, 16, v32
	s_waitcnt lgkmcnt(7)
	v_lshrrev_b32_e32 v95, 16, v33
	v_lshrrev_b32_e32 v97, 16, v34
	;; [unrolled: 3-line block ×8, first 2 shown]
	s_waitcnt lgkmcnt(0)
	v_lshrrev_b32_e32 v93, 16, v94
.LBB0_15:
	s_or_b64 exec, exec, s[2:3]
	v_sub_f16_e32 v182, v98, v93
	v_add_f16_e32 v117, v94, v32
	v_add_f16_e32 v123, v93, v98
	s_movk_i32 s4, 0x3b76
	v_mul_f16_e32 v113, 0xb5c8, v182
	v_sub_f16_e32 v183, v95, v111
	v_sub_f16_e32 v185, v32, v94
	s_mov_b32 s2, 0xb5c8
	v_mul_f16_e32 v115, 0x3b76, v123
	v_fma_f16 v105, v117, s4, -v113
	v_add_f16_e32 v120, v46, v33
	v_add_f16_e32 v127, v111, v95
	s_movk_i32 s5, 0x39e9
	v_mul_f16_e32 v114, 0xb964, v183
	v_add_f16_e32 v105, v31, v105
	v_fma_f16 v108, v185, s2, v115
	v_sub_f16_e32 v187, v33, v46
	s_mov_b32 s2, 0xb964
	v_mul_f16_e32 v118, 0x39e9, v127
	v_fma_f16 v116, v120, s5, -v114
	v_add_f16_e32 v108, v96, v108
	v_add_f16_e32 v105, v116, v105
	v_fma_f16 v116, v187, s2, v118
	v_sub_f16_e32 v184, v97, v109
	v_add_f16_e32 v108, v116, v108
	v_add_f16_e32 v124, v45, v34
	;; [unrolled: 1-line block ×3, first 2 shown]
	s_movk_i32 s14, 0x3722
	v_mul_f16_e32 v116, 0xbb29, v184
	v_sub_f16_e32 v189, v34, v45
	s_mov_b32 s2, 0xbb29
	v_mul_f16_e32 v121, 0x3722, v131
	v_fma_f16 v119, v124, s14, -v116
	v_add_f16_e32 v105, v119, v105
	v_fma_f16 v119, v189, s2, v121
	v_sub_f16_e32 v186, v99, v112
	v_add_f16_e32 v108, v119, v108
	v_add_f16_e32 v128, v44, v35
	;; [unrolled: 1-line block ×3, first 2 shown]
	s_movk_i32 s15, 0x2de8
	v_mul_f16_e32 v119, 0xbbf7, v186
	v_sub_f16_e32 v191, v35, v44
	s_mov_b32 s2, 0xbbf7
	v_mul_f16_e32 v125, 0x2de8, v136
	v_fma_f16 v122, v128, s15, -v119
	v_add_f16_e32 v105, v122, v105
	v_fma_f16 v122, v191, s2, v125
	v_sub_f16_e32 v188, v100, v110
	v_add_f16_e32 v108, v122, v108
	v_add_f16_e32 v132, v43, v36
	v_add_f16_e32 v139, v110, v100
	s_mov_b32 s16, 0xb461
	v_mul_f16_e32 v122, 0xbbb2, v188
	v_sub_f16_e32 v193, v36, v43
	s_mov_b32 s2, 0xbbb2
	v_mul_f16_e32 v129, 0xb461, v139
	v_fma_f16 v126, v132, s16, -v122
	v_add_f16_e32 v105, v126, v105
	v_fma_f16 v126, v193, s2, v129
	v_sub_f16_e32 v190, v101, v107
	v_add_f16_e32 v108, v126, v108
	v_add_f16_e32 v137, v42, v37
	v_add_f16_e32 v143, v107, v101
	s_mov_b32 s17, 0xb8d2
	;; [unrolled: 12-line block ×3, first 2 shown]
	v_mul_f16_e32 v130, 0xb836, v192
	v_sub_f16_e32 v196, v38, v41
	s_mov_b32 s2, 0xb836
	v_mul_f16_e32 v138, 0xbacd, v153
	v_fma_f16 v134, v140, s18, -v130
	v_sub_f16_e32 v194, v104, v106
	v_add_f16_e32 v105, v134, v105
	v_fma_f16 v134, v196, s2, v138
	v_add_f16_e32 v144, v40, v39
	v_add_f16_e32 v154, v106, v104
	s_mov_b32 s19, 0xbbdd
	v_mul_f16_e32 v135, 0xb1e1, v194
	v_add_f16_e32 v108, v134, v108
	v_sub_f16_e32 v197, v39, v40
	s_mov_b32 s2, 0xb1e1
	v_mul_f16_e32 v141, 0xbbdd, v154
	v_fma_f16 v134, v144, s19, -v135
	v_add_f16_e32 v105, v134, v105
	v_fma_f16 v134, v197, s2, v141
	v_add_f16_e32 v108, v134, v108
	s_barrier
	s_and_saveexec_b64 s[2:3], vcc
	s_cbranch_execz .LBB0_17
; %bb.16:
	v_mul_f16_e32 v24, 0x3b76, v117
	buffer_store_dword v24, off, s[36:39], 0 offset:16 ; 4-byte Folded Spill
	v_mul_f16_e32 v24, 0xb5c8, v185
	buffer_store_dword v24, off, s[36:39], 0 offset:52 ; 4-byte Folded Spill
	;; [unrolled: 2-line block ×17, first 2 shown]
	v_fma_f16 v134, v123, s5, v24
	v_mul_f16_e32 v24, 0xbbf7, v187
	v_add_f16_e32 v134, v96, v134
	buffer_store_dword v24, off, s[36:39], 0 offset:96 ; 4-byte Folded Spill
	buffer_store_dword v86, off, s[36:39], 0 offset:4 ; 4-byte Folded Spill
	v_mov_b32_e32 v86, v148
	v_mov_b32_e32 v148, v142
	v_fma_f16 v142, v127, s15, v24
	v_mul_f16_e32 v24, 0xba62, v189
	v_add_f16_e32 v134, v142, v134
	buffer_store_dword v24, off, s[36:39], 0 offset:100 ; 4-byte Folded Spill
	v_fma_f16 v142, v131, s17, v24
	v_mul_f16_e32 v24, 0xb1e1, v191
	v_add_f16_e32 v134, v142, v134
	buffer_store_dword v24, off, s[36:39], 0 offset:104 ; 4-byte Folded Spill
	;; [unrolled: 4-line block ×4, first 2 shown]
	v_fma_f16 v142, v143, s16, v24
	v_mul_f16_e32 v24, 0x3b29, v196
	v_add_f16_e32 v134, v142, v134
	v_fma_f16 v142, v153, s14, v24
	v_mul_f16_e32 v173, 0x35c8, v197
	v_add_f16_e32 v134, v142, v134
	v_fma_f16 v142, v154, s4, v173
	v_mul_f16_e32 v174, 0xb964, v182
	buffer_store_dword v24, off, s[36:39], 0 offset:116 ; 4-byte Folded Spill
	v_add_f16_e32 v24, v142, v134
	v_fma_f16 v142, v117, s5, -v174
	v_mul_f16_e32 v175, 0xbbf7, v183
	v_add_f16_e32 v142, v31, v142
	buffer_store_dword v155, off, s[36:39], 0 ; 4-byte Folded Spill
	v_fma_f16 v155, v120, s15, -v175
	v_mul_f16_e32 v176, 0xba62, v184
	v_add_f16_e32 v142, v155, v142
	v_fma_f16 v155, v124, s17, -v176
	v_mul_f16_e32 v177, 0xb1e1, v186
	v_add_f16_e32 v142, v155, v142
	v_fma_f16 v155, v128, s19, -v177
	v_mul_f16_e32 v178, 0x3836, v188
	v_add_f16_e32 v142, v155, v142
	v_fma_f16 v155, v132, s18, -v178
	v_mul_f16_e32 v179, 0x3bb2, v190
	v_add_f16_e32 v142, v155, v142
	v_fma_f16 v155, v137, s16, -v179
	v_mul_f16_e32 v180, 0x3b29, v192
	v_add_f16_e32 v142, v155, v142
	v_fma_f16 v155, v140, s14, -v180
	v_mul_f16_e32 v181, 0x35c8, v194
	v_add_f16_e32 v142, v155, v142
	v_fma_f16 v155, v144, s4, -v181
	v_mul_f16_e32 v198, 0xbb29, v185
	buffer_store_dword v24, off, s[36:39], 0 offset:8 ; 4-byte Folded Spill
	v_add_f16_e32 v24, v155, v142
	v_fma_f16 v155, v123, s14, v198
	v_mul_f16_e32 v199, 0xba62, v187
	v_add_f16_e32 v155, v96, v155
	v_fma_f16 v164, v127, s17, v199
	v_mul_f16_e32 v200, 0x31e1, v189
	;; [unrolled: 3-line block ×8, first 2 shown]
	buffer_store_dword v24, off, s[36:39], 0 offset:12 ; 4-byte Folded Spill
	v_add_f16_e32 v24, v164, v155
	v_fma_f16 v164, v117, s14, -v206
	v_mul_f16_e32 v207, 0xba62, v183
	v_add_f16_e32 v164, v31, v164
	v_fma_f16 v169, v120, s17, -v207
	v_mul_f16_e32 v208, 0x31e1, v184
	v_add_f16_e32 v164, v169, v164
	v_fma_f16 v169, v124, s19, -v208
	v_mul_f16_e32 v209, 0x3bb2, v186
	v_add_f16_e32 v164, v169, v164
	v_fma_f16 v169, v128, s16, -v209
	v_mul_f16_e32 v210, 0x3964, v188
	v_add_f16_e32 v164, v169, v164
	v_fma_f16 v169, v132, s5, -v210
	v_mul_f16_e32 v211, 0xb5c8, v190
	v_add_f16_e32 v164, v169, v164
	v_fma_f16 v169, v137, s4, -v211
	v_mul_f16_e32 v212, 0xbbf7, v192
	v_add_f16_e32 v164, v169, v164
	v_fma_f16 v169, v140, s15, -v212
	v_mul_f16_e32 v213, 0xb836, v194
	v_add_f16_e32 v164, v169, v164
	v_fma_f16 v169, v144, s18, -v213
	v_mul_f16_e32 v214, 0xbbf7, v185
	buffer_store_dword v24, off, s[36:39], 0 offset:48 ; 4-byte Folded Spill
	v_add_f16_e32 v24, v169, v164
	v_fma_f16 v169, v123, s15, v214
	v_mul_f16_e32 v215, 0xb1e1, v187
	v_add_f16_e32 v169, v96, v169
	v_fma_f16 v216, v127, s19, v215
	v_add_f16_e32 v169, v216, v169
	v_mul_f16_e32 v216, 0x3bb2, v189
	v_fma_f16 v217, v131, s16, v216
	v_add_f16_e32 v169, v217, v169
	v_mul_f16_e32 v217, 0x35c8, v191
	;; [unrolled: 3-line block ×6, first 2 shown]
	v_fma_f16 v222, v154, s5, v221
	buffer_store_dword v24, off, s[36:39], 0 offset:84 ; 4-byte Folded Spill
	v_add_f16_e32 v24, v222, v169
	v_mul_f16_e32 v222, 0xbbf7, v182
	v_fma_f16 v223, v117, s15, -v222
	v_mul_f16_e32 v224, 0xb1e1, v183
	v_add_f16_e32 v223, v31, v223
	v_fma_f16 v225, v120, s19, -v224
	v_add_f16_e32 v223, v225, v223
	v_mul_f16_e32 v225, 0x3bb2, v184
	v_fma_f16 v226, v124, s16, -v225
	v_add_f16_e32 v223, v226, v223
	v_mul_f16_e32 v226, 0x35c8, v186
	;; [unrolled: 3-line block ×6, first 2 shown]
	v_fma_f16 v231, v144, s5, -v230
	buffer_store_dword v24, off, s[36:39], 0 offset:92 ; 4-byte Folded Spill
	v_add_f16_e32 v24, v231, v223
	v_mul_f16_e32 v231, 0xbbb2, v185
	v_fma_f16 v232, v123, s16, v231
	v_mul_f16_e32 v233, 0x3836, v187
	v_add_f16_e32 v232, v96, v232
	v_fma_f16 v234, v127, s18, v233
	v_add_f16_e32 v232, v234, v232
	v_mul_f16_e32 v234, 0x3964, v189
	v_fma_f16 v235, v131, s5, v234
	v_add_f16_e32 v232, v235, v232
	v_mul_f16_e32 v235, 0xbb29, v191
	;; [unrolled: 3-line block ×6, first 2 shown]
	v_fma_f16 v240, v154, s17, v239
	buffer_store_dword v24, off, s[36:39], 0 offset:120 ; 4-byte Folded Spill
	v_add_f16_e32 v24, v240, v232
	v_mul_f16_e32 v240, 0xbbb2, v182
	v_fma_f16 v241, v117, s16, -v240
	v_mul_f16_e32 v242, 0x3836, v183
	v_add_f16_e32 v241, v31, v241
	v_fma_f16 v243, v120, s18, -v242
	v_add_f16_e32 v241, v243, v241
	v_mul_f16_e32 v243, 0x3964, v184
	v_fma_f16 v244, v124, s5, -v243
	v_add_f16_e32 v241, v244, v241
	v_mul_f16_e32 v244, 0xbb29, v186
	;; [unrolled: 3-line block ×7, first 2 shown]
	v_fma_f16 v250, v123, s17, v249
	v_mul_f16_e32 v251, 0x3bb2, v187
	v_add_f16_e32 v250, v96, v250
	v_fma_f16 v252, v127, s16, v251
	v_add_f16_e32 v250, v252, v250
	v_mul_f16_e32 v252, 0xb5c8, v189
	v_fma_f16 v253, v131, s4, v252
	v_add_f16_e32 v250, v253, v250
	v_mul_f16_e32 v253, 0xb836, v191
	;; [unrolled: 3-line block ×7, first 2 shown]
	v_fma_f16 v61, v117, s17, -v60
	v_mul_f16_e32 v62, 0x3bb2, v183
	v_add_f16_e32 v61, v31, v61
	v_fma_f16 v63, v120, s16, -v62
	v_add_f16_e32 v61, v63, v61
	v_mul_f16_e32 v63, 0xb5c8, v184
	v_fma_f16 v64, v124, s4, -v63
	v_add_f16_e32 v61, v64, v61
	v_mul_f16_e32 v64, 0xb836, v186
	;; [unrolled: 3-line block ×3, first 2 shown]
	v_fma_f16 v60, v117, s17, v60
	v_fma_f16 v74, v132, s15, -v65
	v_add_f16_e32 v60, v31, v60
	v_fma_f16 v62, v120, s16, v62
	v_add_f16_e32 v61, v74, v61
	v_mul_f16_e32 v74, 0xb964, v190
	v_add_f16_e32 v60, v62, v60
	v_fma_f16 v62, v124, s4, v63
	v_fma_f16 v75, v137, s5, -v74
	v_add_f16_e32 v60, v62, v60
	v_fma_f16 v62, v128, s18, v64
	v_add_f16_e32 v61, v75, v61
	v_mul_f16_e32 v75, 0xb1e1, v192
	v_add_f16_e32 v60, v62, v60
	;; [unrolled: 7-line block ×3, first 2 shown]
	v_fma_f16 v62, v140, s19, v75
	v_add_f16_e32 v60, v62, v60
	v_fma_f16 v62, v144, s14, v76
	v_add_f16_e32 v60, v62, v60
	v_fma_f16 v62, v123, s16, -v231
	v_add_f16_e32 v62, v96, v62
	v_fma_f16 v63, v127, s18, -v233
	;; [unrolled: 2-line block ×8, first 2 shown]
	v_add_f16_e32 v62, v63, v62
	v_fma_f16 v63, v117, s16, v240
	v_add_f16_e32 v63, v31, v63
	v_fma_f16 v64, v120, s18, v242
	v_fma_f16 v77, v144, s14, -v76
	v_add_f16_e32 v63, v64, v63
	v_fma_f16 v64, v124, s5, v243
	v_add_f16_e32 v223, v77, v61
	v_mul_f16_e32 v77, 0xb836, v185
	v_add_f16_e32 v63, v64, v63
	v_fma_f16 v64, v128, s14, v244
	v_fma_f16 v78, v123, s18, v77
	v_mul_f16_e32 v79, 0x3b29, v187
	v_add_f16_e32 v63, v64, v63
	v_fma_f16 v64, v132, s19, v245
	v_add_f16_e32 v78, v96, v78
	v_fma_f16 v80, v127, s14, v79
	;; [unrolled: 2-line block ×3, first 2 shown]
	v_add_f16_e32 v78, v80, v78
	v_mul_f16_e32 v80, 0xbbf7, v189
	v_add_f16_e32 v63, v64, v63
	v_fma_f16 v64, v140, s4, v247
	v_fma_f16 v81, v131, s15, v80
	v_add_f16_e32 v63, v64, v63
	v_fma_f16 v64, v144, s17, v248
	v_add_f16_e32 v78, v81, v78
	v_mul_f16_e32 v81, 0x3a62, v191
	v_add_f16_e32 v63, v64, v63
	v_fma_f16 v64, v123, s15, -v214
	v_fma_f16 v134, v136, s17, v81
	v_add_f16_e32 v64, v96, v64
	v_fma_f16 v65, v127, s19, -v215
	v_add_f16_e32 v78, v134, v78
	v_mul_f16_e32 v134, 0xb5c8, v193
	v_add_f16_e32 v64, v65, v64
	v_fma_f16 v65, v131, s16, -v216
	v_fma_f16 v82, v139, s4, v134
	v_add_f16_e32 v64, v65, v64
	v_fma_f16 v65, v136, s4, -v217
	;; [unrolled: 7-line block ×3, first 2 shown]
	v_add_f16_e32 v78, v142, v78
	v_mul_f16_e32 v142, 0x3964, v196
	v_add_f16_e32 v64, v65, v64
	v_fma_f16 v65, v153, s17, -v220
	v_mov_b32_e32 v162, v160
	v_mov_b32_e32 v160, v145
	v_fma_f16 v145, v153, s5, v142
	v_add_f16_e32 v64, v65, v64
	v_fma_f16 v65, v154, s5, -v221
	v_add_f16_e32 v78, v145, v78
	v_mul_f16_e32 v145, 0xbbb2, v197
	v_add_f16_e32 v64, v65, v64
	v_fma_f16 v65, v117, s15, v222
	v_mov_b32_e32 v161, v146
	v_fma_f16 v146, v154, s16, v145
	v_fma_f16 v77, v123, s18, -v77
	v_add_f16_e32 v65, v31, v65
	v_fma_f16 v74, v120, s19, v224
	v_add_f16_e32 v169, v146, v78
	v_mul_f16_e32 v146, 0xb836, v182
	v_add_f16_e32 v77, v96, v77
	v_fma_f16 v79, v127, s14, -v79
	v_add_f16_e32 v65, v74, v65
	v_fma_f16 v74, v124, s16, v225
	buffer_store_dword v24, off, s[36:39], 0 offset:124 ; 4-byte Folded Spill
	v_mov_b32_e32 v164, v147
	v_fma_f16 v147, v117, s18, -v146
	v_mul_f16_e32 v24, 0x3b29, v183
	v_add_f16_e32 v77, v79, v77
	v_fma_f16 v79, v131, s15, -v80
	v_add_f16_e32 v65, v74, v65
	v_fma_f16 v74, v128, s4, v226
	v_add_f16_e32 v147, v31, v147
	v_mov_b32_e32 v87, v149
	v_fma_f16 v149, v120, s14, -v24
	v_add_f16_e32 v77, v79, v77
	v_fma_f16 v79, v136, s17, -v81
	v_add_f16_e32 v65, v74, v65
	v_fma_f16 v74, v132, s14, v227
	v_add_f16_e32 v147, v149, v147
	v_mul_f16_e32 v149, 0xbbf7, v184
	v_add_f16_e32 v77, v79, v77
	v_fma_f16 v79, v139, s4, -v134
	v_add_f16_e32 v65, v74, v65
	v_fma_f16 v74, v137, s18, v228
	v_fma_f16 v150, v124, s15, -v149
	v_add_f16_e32 v77, v79, v77
	v_fma_f16 v79, v143, s19, -v82
	v_add_f16_e32 v65, v74, v65
	v_fma_f16 v74, v140, s17, v229
	v_add_f16_e32 v147, v150, v147
	v_mul_f16_e32 v150, 0x3a62, v186
	v_add_f16_e32 v77, v79, v77
	v_fma_f16 v79, v153, s5, -v142
	v_add_f16_e32 v65, v74, v65
	v_fma_f16 v74, v144, s5, v230
	v_mov_b32_e32 v88, v151
	v_fma_f16 v151, v128, s17, -v150
	v_add_f16_e32 v77, v79, v77
	v_fma_f16 v79, v154, s16, -v145
	v_add_f16_e32 v65, v74, v65
	;; [unrolled: 2-line block ×3, first 2 shown]
	v_mul_f16_e32 v151, 0xb5c8, v188
	v_add_f16_e32 v77, v79, v77
	v_fma_f16 v79, v117, s18, v146
	v_add_f16_e32 v74, v96, v74
	v_fma_f16 v75, v127, s17, -v199
	v_mov_b32_e32 v90, v152
	v_fma_f16 v152, v132, s4, -v151
	v_add_f16_e32 v79, v31, v79
	v_fma_f16 v24, v120, s14, v24
	v_add_f16_e32 v74, v75, v74
	v_fma_f16 v75, v131, s19, -v200
	v_add_f16_e32 v147, v152, v147
	v_mul_f16_e32 v152, 0xb1e1, v190
	v_add_f16_e32 v24, v24, v79
	v_fma_f16 v79, v124, s15, v149
	v_add_f16_e32 v74, v75, v74
	v_fma_f16 v75, v136, s16, -v201
	v_fma_f16 v155, v137, s19, -v152
	v_add_f16_e32 v24, v79, v24
	v_fma_f16 v79, v128, s17, v150
	v_add_f16_e32 v74, v75, v74
	v_fma_f16 v75, v139, s5, -v202
	v_add_f16_e32 v147, v155, v147
	v_mul_f16_e32 v155, 0x3964, v192
	v_add_f16_e32 v24, v79, v24
	v_fma_f16 v79, v132, s4, v151
	v_add_f16_e32 v74, v75, v74
	v_fma_f16 v75, v143, s4, -v203
	v_mov_b32_e32 v83, v156
	v_fma_f16 v156, v140, s5, -v155
	v_add_f16_e32 v24, v79, v24
	v_fma_f16 v79, v137, s19, v152
	v_add_f16_e32 v74, v75, v74
	v_fma_f16 v75, v153, s15, -v204
	v_add_f16_e32 v147, v156, v147
	v_mul_f16_e32 v156, 0xbbb2, v194
	v_add_f16_e32 v24, v79, v24
	v_fma_f16 v79, v140, s5, v155
	v_add_f16_e32 v74, v75, v74
	v_fma_f16 v75, v154, s18, -v205
	v_add_f16_e32 v24, v79, v24
	v_fma_f16 v79, v144, s16, v156
	v_add_f16_e32 v74, v75, v74
	v_fma_f16 v75, v117, s14, v206
	v_add_f16_e32 v24, v79, v24
	v_fma_f16 v79, v123, s17, -v249
	v_add_f16_e32 v75, v31, v75
	v_fma_f16 v76, v120, s17, v207
	v_add_f16_e32 v79, v96, v79
	v_fma_f16 v80, v127, s16, -v251
	;; [unrolled: 4-line block ×8, first 2 shown]
	v_add_f16_e32 v75, v76, v75
	buffer_load_dword v76, off, s[36:39], 0 offset:88 ; 4-byte Folded Reload
	v_add_f16_e32 v59, v59, v79
	buffer_load_dword v79, off, s[36:39], 0 offset:96 ; 4-byte Folded Reload
	v_fma_f16 v80, v120, s15, v175
	v_mov_b32_e32 v142, v148
	v_mov_b32_e32 v148, v86
	buffer_load_dword v86, off, s[36:39], 0 offset:4 ; 4-byte Folded Reload
	v_mov_b32_e32 v78, v157
	v_fma_f16 v157, v144, s16, -v156
	v_add_f16_e32 v147, v157, v147
	v_mul_f16_e32 v157, 0xb1e1, v185
	v_fma_f16 v185, v123, s19, v157
	v_mul_f16_e32 v187, 0x35c8, v187
	v_add_f16_e32 v185, v96, v185
	v_mov_b32_e32 v61, v158
	v_fma_f16 v158, v127, s4, v187
	v_add_f16_e32 v158, v158, v185
	v_mul_f16_e32 v185, 0xb836, v189
	v_fma_f16 v189, v131, s18, v185
	v_add_f16_e32 v158, v189, v158
	v_mul_f16_e32 v189, 0x3964, v191
	;; [unrolled: 3-line block ×6, first 2 shown]
	v_fma_f16 v197, v154, s15, v196
	v_mul_f16_e32 v182, 0xb1e1, v182
	v_add_f16_e32 v158, v197, v158
	v_fma_f16 v197, v117, s19, -v182
	v_fma_f16 v182, v117, s19, v182
	v_add_f16_e32 v197, v31, v197
	v_add_f16_e32 v182, v31, v182
	v_mul_f16_e32 v183, 0x35c8, v183
	v_fma_f16 v157, v123, s19, -v157
	v_mov_b32_e32 v58, v159
	v_fma_f16 v159, v120, s4, -v183
	v_mul_f16_e32 v184, 0xb836, v184
	v_add_f16_e32 v157, v96, v157
	v_fma_f16 v187, v127, s4, -v187
	v_fma_f16 v183, v120, s4, v183
	v_add_f16_e32 v159, v159, v197
	v_fma_f16 v197, v124, s18, -v184
	v_mul_f16_e32 v186, 0x3964, v186
	v_add_f16_e32 v157, v187, v157
	v_fma_f16 v185, v131, s18, -v185
	v_add_f16_e32 v182, v183, v182
	v_fma_f16 v183, v124, s18, v184
	v_add_f16_e32 v159, v197, v159
	v_fma_f16 v197, v128, s5, -v186
	v_mul_f16_e32 v188, 0xba62, v188
	v_add_f16_e32 v157, v185, v157
	v_fma_f16 v185, v136, s5, -v189
	v_add_f16_e32 v182, v183, v182
	;; [unrolled: 7-line block ×4, first 2 shown]
	v_fma_f16 v183, v137, s14, v190
	v_add_f16_e32 v159, v197, v159
	v_fma_f16 v197, v140, s16, -v192
	v_mul_f16_e32 v194, 0x3bf7, v194
	v_add_f16_e32 v157, v185, v157
	s_waitcnt vmcnt(2)
	v_fma_f16 v76, v123, s5, -v76
	v_add_f16_e32 v76, v96, v76
	s_waitcnt vmcnt(1)
	v_fma_f16 v79, v127, s15, -v79
	v_add_f16_e32 v76, v79, v76
	buffer_load_dword v79, off, s[36:39], 0 offset:100 ; 4-byte Folded Reload
	v_fma_f16 v185, v153, s16, -v195
	v_add_f16_e32 v182, v183, v182
	v_fma_f16 v183, v140, s16, v192
	v_add_f16_e32 v159, v197, v159
	v_fma_f16 v197, v144, s15, -v194
	v_add_f16_e32 v157, v185, v157
	v_fma_f16 v185, v154, s15, -v196
	v_add_f16_e32 v182, v183, v182
	v_fma_f16 v183, v144, s15, v194
	v_add_f16_e32 v159, v197, v159
	v_add_f16_e32 v157, v185, v157
	;; [unrolled: 1-line block ×3, first 2 shown]
	v_pack_b32_f16 v24, v24, v77
	v_mov_b32_e32 v145, v160
	v_mov_b32_e32 v160, v162
	;; [unrolled: 1-line block ×7, first 2 shown]
	buffer_load_dword v81, off, s[36:39], 0 offset:56 ; 4-byte Folded Reload
	buffer_load_dword v82, off, s[36:39], 0 offset:20 ; 4-byte Folded Reload
	s_waitcnt vmcnt(2)
	v_fma_f16 v79, v131, s17, -v79
	v_add_f16_e32 v76, v79, v76
	buffer_load_dword v79, off, s[36:39], 0 offset:104 ; 4-byte Folded Reload
	s_waitcnt vmcnt(2)
	v_sub_f16_e32 v81, v118, v81
	s_waitcnt vmcnt(1)
	v_add_f16_e32 v82, v82, v114
	s_waitcnt vmcnt(0)
	v_fma_f16 v79, v136, s19, -v79
	v_add_f16_e32 v76, v79, v76
	buffer_load_dword v79, off, s[36:39], 0 offset:108 ; 4-byte Folded Reload
	s_waitcnt vmcnt(0)
	v_fma_f16 v79, v139, s18, -v79
	v_add_f16_e32 v76, v79, v76
	buffer_load_dword v79, off, s[36:39], 0 offset:112 ; 4-byte Folded Reload
	;; [unrolled: 4-line block ×3, first 2 shown]
	s_waitcnt vmcnt(0)
	v_fma_f16 v79, v153, s14, -v79
	v_add_f16_e32 v76, v79, v76
	v_fma_f16 v79, v154, s4, -v173
	v_add_f16_e32 v76, v79, v76
	v_fma_f16 v79, v117, s5, v174
	v_add_f16_e32 v79, v31, v79
	v_add_f16_e32 v79, v80, v79
	v_fma_f16 v80, v124, s17, v176
	v_add_f16_e32 v79, v80, v79
	v_fma_f16 v80, v128, s19, v177
	;; [unrolled: 2-line block ×6, first 2 shown]
	v_add_f16_e32 v79, v80, v79
	buffer_load_dword v80, off, s[36:39], 0 offset:52 ; 4-byte Folded Reload
	s_mov_b32 s4, 0x5040100
	s_waitcnt vmcnt(0)
	v_sub_f16_e32 v80, v115, v80
	v_add_f16_e32 v80, v96, v80
	v_add_f16_e32 v80, v81, v80
	buffer_load_dword v81, off, s[36:39], 0 offset:60 ; 4-byte Folded Reload
	s_waitcnt vmcnt(0)
	v_sub_f16_e32 v81, v121, v81
	v_add_f16_e32 v80, v81, v80
	buffer_load_dword v81, off, s[36:39], 0 offset:64 ; 4-byte Folded Reload
	s_waitcnt vmcnt(0)
	v_sub_f16_e32 v81, v125, v81
	v_add_f16_e32 v80, v81, v80
	buffer_load_dword v81, off, s[36:39], 0 offset:68 ; 4-byte Folded Reload
	s_waitcnt vmcnt(0)
	v_sub_f16_e32 v81, v129, v81
	v_add_f16_e32 v80, v81, v80
	buffer_load_dword v81, off, s[36:39], 0 offset:72 ; 4-byte Folded Reload
	s_waitcnt vmcnt(0)
	v_sub_f16_e32 v81, v133, v81
	v_add_f16_e32 v80, v81, v80
	buffer_load_dword v81, off, s[36:39], 0 offset:76 ; 4-byte Folded Reload
	s_waitcnt vmcnt(0)
	v_sub_f16_e32 v81, v138, v81
	v_add_f16_e32 v80, v81, v80
	buffer_load_dword v81, off, s[36:39], 0 offset:80 ; 4-byte Folded Reload
	s_waitcnt vmcnt(0)
	v_sub_f16_e32 v81, v141, v81
	v_add_f16_e32 v80, v81, v80
	buffer_load_dword v81, off, s[36:39], 0 offset:16 ; 4-byte Folded Reload
	buffer_load_dword v155, off, s[36:39], 0 ; 4-byte Folded Reload
	s_waitcnt vmcnt(1)
	v_add_f16_e32 v81, v81, v113
	v_add_f16_e32 v81, v31, v81
	;; [unrolled: 1-line block ×3, first 2 shown]
	buffer_load_dword v82, off, s[36:39], 0 offset:24 ; 4-byte Folded Reload
	v_add_f16_e32 v31, v32, v31
	v_add_f16_e32 v32, v98, v96
	;; [unrolled: 1-line block ×32, first 2 shown]
	v_mul_lo_u16_e32 v33, 17, v47
	v_lshlrev_b32_e32 v33, 2, v33
	v_pack_b32_f16 v31, v31, v32
	v_pack_b32_f16 v32, v79, v76
	s_waitcnt vmcnt(0)
	v_add_f16_e32 v82, v82, v116
	v_add_f16_e32 v81, v82, v81
	buffer_load_dword v82, off, s[36:39], 0 offset:28 ; 4-byte Folded Reload
	s_waitcnt vmcnt(0)
	v_add_f16_e32 v82, v82, v119
	v_add_f16_e32 v81, v82, v81
	buffer_load_dword v82, off, s[36:39], 0 offset:32 ; 4-byte Folded Reload
	s_waitcnt vmcnt(0)
	v_add_f16_e32 v82, v82, v122
	v_add_f16_e32 v81, v82, v81
	buffer_load_dword v82, off, s[36:39], 0 offset:36 ; 4-byte Folded Reload
	s_waitcnt vmcnt(0)
	v_add_f16_e32 v82, v82, v126
	v_add_f16_e32 v81, v82, v81
	buffer_load_dword v82, off, s[36:39], 0 offset:40 ; 4-byte Folded Reload
	s_waitcnt vmcnt(0)
	v_add_f16_e32 v82, v82, v130
	v_add_f16_e32 v81, v82, v81
	buffer_load_dword v82, off, s[36:39], 0 offset:44 ; 4-byte Folded Reload
	s_waitcnt vmcnt(0)
	v_add_f16_e32 v82, v82, v135
	v_add_f16_e32 v81, v82, v81
	v_pack_b32_f16 v34, v81, v80
	ds_write2_b32 v33, v31, v34 offset1:1
	v_pack_b32_f16 v31, v75, v74
	ds_write2_b32 v33, v32, v31 offset0:2 offset1:3
	v_pack_b32_f16 v31, v63, v62
	v_pack_b32_f16 v32, v65, v64
	ds_write2_b32 v33, v32, v31 offset0:4 offset1:5
	v_pack_b32_f16 v31, v60, v59
	ds_write2_b32 v33, v31, v24 offset0:6 offset1:7
	v_pack_b32_f16 v24, v159, v158
	v_pack_b32_f16 v31, v182, v157
	ds_write2_b32 v33, v31, v24 offset0:8 offset1:9
	v_pack_b32_f16 v24, v223, v232
	v_pack_b32_f16 v31, v147, v169
	ds_write2_b32 v33, v31, v24 offset0:10 offset1:11
	buffer_load_dword v24, off, s[36:39], 0 offset:92 ; 4-byte Folded Reload
	buffer_load_dword v31, off, s[36:39], 0 offset:120 ; 4-byte Folded Reload
	v_mov_b32_e32 v159, v58
	v_mov_b32_e32 v158, v61
	;; [unrolled: 1-line block ×4, first 2 shown]
	s_waitcnt vmcnt(0)
	v_pack_b32_f16 v24, v31, v24
	buffer_load_dword v31, off, s[36:39], 0 offset:124 ; 4-byte Folded Reload
	s_waitcnt vmcnt(0)
	v_pack_b32_f16 v31, v241, v31
	ds_write2_b32 v33, v31, v24 offset0:12 offset1:13
	buffer_load_dword v24, off, s[36:39], 0 offset:8 ; 4-byte Folded Reload
	buffer_load_dword v31, off, s[36:39], 0 offset:12 ; 4-byte Folded Reload
	s_waitcnt vmcnt(0)
	v_pack_b32_f16 v24, v31, v24
	buffer_load_dword v31, off, s[36:39], 0 offset:48 ; 4-byte Folded Reload
	buffer_load_dword v32, off, s[36:39], 0 offset:84 ; 4-byte Folded Reload
	s_waitcnt vmcnt(0)
	v_pack_b32_f16 v31, v32, v31
	ds_write2_b32 v33, v31, v24 offset0:14 offset1:15
	v_perm_b32 v24, v108, v105, s4
	ds_write_b32 v33, v24 offset:64
.LBB0_17:
	s_or_b64 exec, exec, s[2:3]
	v_add_u32_e32 v24, 0xe00, v49
	s_waitcnt lgkmcnt(0)
	s_barrier
	ds_read2_b32 v[33:34], v24 offset0:56 offset1:175
	v_add_u32_e32 v62, 0x1200, v49
	ds_read2_b32 v[37:38], v62 offset0:38 offset1:157
	v_add_u32_e32 v78, 0x1600, v49
	ds_read2_b32 v[41:42], v78 offset0:20 offset1:139
	s_waitcnt lgkmcnt(2)
	v_lshrrev_b32_e32 v59, 16, v33
	v_mul_f16_sdwa v98, v50, v59 dst_sel:DWORD dst_unused:UNUSED_PAD src0_sel:WORD_1 src1_sel:DWORD
	v_lshrrev_b32_e32 v63, 16, v34
	v_fma_f16 v98, v50, v33, v98
	v_mul_f16_sdwa v33, v50, v33 dst_sel:DWORD dst_unused:UNUSED_PAD src0_sel:WORD_1 src1_sel:DWORD
	v_fma_f16 v33, v50, v59, -v33
	v_mul_f16_sdwa v50, v51, v63 dst_sel:DWORD dst_unused:UNUSED_PAD src0_sel:WORD_1 src1_sel:DWORD
	s_waitcnt lgkmcnt(1)
	v_lshrrev_b32_e32 v74, 16, v37
	v_fma_f16 v50, v51, v34, v50
	v_mul_f16_sdwa v34, v51, v34 dst_sel:DWORD dst_unused:UNUSED_PAD src0_sel:WORD_1 src1_sel:DWORD
	v_fma_f16 v34, v51, v63, -v34
	v_mul_f16_sdwa v51, v52, v74 dst_sel:DWORD dst_unused:UNUSED_PAD src0_sel:WORD_1 src1_sel:DWORD
	v_lshrrev_b32_e32 v76, 16, v38
	v_add_u32_e32 v80, 0x1800, v49
	v_fma_f16 v51, v52, v37, v51
	v_mul_f16_sdwa v37, v52, v37 dst_sel:DWORD dst_unused:UNUSED_PAD src0_sel:WORD_1 src1_sel:DWORD
	ds_read2_b32 v[45:46], v80 offset0:130 offset1:249
	v_fma_f16 v37, v52, v74, -v37
	v_mul_f16_sdwa v52, v53, v76 dst_sel:DWORD dst_unused:UNUSED_PAD src0_sel:WORD_1 src1_sel:DWORD
	s_waitcnt lgkmcnt(1)
	v_lshrrev_b32_e32 v81, 16, v41
	v_fma_f16 v52, v53, v38, v52
	v_mul_f16_sdwa v38, v53, v38 dst_sel:DWORD dst_unused:UNUSED_PAD src0_sel:WORD_1 src1_sel:DWORD
	v_fma_f16 v38, v53, v76, -v38
	v_mul_f16_sdwa v53, v54, v81 dst_sel:DWORD dst_unused:UNUSED_PAD src0_sel:WORD_1 src1_sel:DWORD
	v_lshrrev_b32_e32 v93, 16, v42
	v_fma_f16 v53, v54, v41, v53
	v_mul_f16_sdwa v41, v54, v41 dst_sel:DWORD dst_unused:UNUSED_PAD src0_sel:WORD_1 src1_sel:DWORD
	ds_read2_b32 v[31:32], v49 offset1:119
	v_fma_f16 v41, v54, v81, -v41
	v_mul_f16_sdwa v54, v55, v93 dst_sel:DWORD dst_unused:UNUSED_PAD src0_sel:WORD_1 src1_sel:DWORD
	v_add_u32_e32 v61, 0x200, v49
	s_waitcnt lgkmcnt(1)
	v_lshrrev_b32_e32 v95, 16, v45
	v_fma_f16 v54, v55, v42, v54
	v_mul_f16_sdwa v42, v55, v42 dst_sel:DWORD dst_unused:UNUSED_PAD src0_sel:WORD_1 src1_sel:DWORD
	ds_read2_b32 v[35:36], v61 offset0:110 offset1:229
	v_fma_f16 v42, v55, v93, -v42
	v_mul_f16_sdwa v55, v56, v95 dst_sel:DWORD dst_unused:UNUSED_PAD src0_sel:WORD_1 src1_sel:DWORD
	v_add_u32_e32 v64, 0x600, v49
	v_lshrrev_b32_e32 v97, 16, v46
	v_fma_f16 v55, v56, v45, v55
	v_mul_f16_sdwa v45, v56, v45 dst_sel:DWORD dst_unused:UNUSED_PAD src0_sel:WORD_1 src1_sel:DWORD
	ds_read2_b32 v[39:40], v64 offset0:92 offset1:211
	v_fma_f16 v45, v56, v95, -v45
	v_mul_f16_sdwa v56, v57, v97 dst_sel:DWORD dst_unused:UNUSED_PAD src0_sel:WORD_1 src1_sel:DWORD
	s_waitcnt lgkmcnt(2)
	v_lshrrev_b32_e32 v58, 16, v31
	v_add_u32_e32 v79, 0xa00, v49
	v_fma_f16 v56, v57, v46, v56
	v_mul_f16_sdwa v46, v57, v46 dst_sel:DWORD dst_unused:UNUSED_PAD src0_sel:WORD_1 src1_sel:DWORD
	v_lshrrev_b32_e32 v60, 16, v32
	ds_read2_b32 v[43:44], v79 offset0:74 offset1:193
	v_fma_f16 v46, v57, v97, -v46
	v_sub_f16_e32 v57, v31, v98
	v_sub_f16_e32 v33, v58, v33
	s_waitcnt lgkmcnt(2)
	v_lshrrev_b32_e32 v65, 16, v35
	v_fma_f16 v31, v31, 2.0, -v57
	v_fma_f16 v58, v58, 2.0, -v33
	v_sub_f16_e32 v50, v32, v50
	v_sub_f16_e32 v34, v60, v34
	v_lshrrev_b32_e32 v75, 16, v36
	v_fma_f16 v32, v32, 2.0, -v50
	v_fma_f16 v59, v60, 2.0, -v34
	v_sub_f16_e32 v51, v35, v51
	v_sub_f16_e32 v37, v65, v37
	v_pack_b32_f16 v31, v31, v58
	v_pack_b32_f16 v33, v57, v33
	s_waitcnt lgkmcnt(1)
	v_lshrrev_b32_e32 v77, 16, v39
	v_fma_f16 v35, v35, 2.0, -v51
	v_fma_f16 v60, v65, 2.0, -v37
	v_sub_f16_e32 v52, v36, v52
	v_sub_f16_e32 v38, v75, v38
	s_waitcnt lgkmcnt(0)
	s_barrier
	ds_write2_b32 v142, v31, v33 offset1:17
	v_pack_b32_f16 v31, v32, v59
	v_pack_b32_f16 v32, v50, v34
	v_lshrrev_b32_e32 v82, 16, v40
	v_fma_f16 v36, v36, 2.0, -v52
	v_fma_f16 v63, v75, 2.0, -v38
	v_sub_f16_e32 v53, v39, v53
	v_sub_f16_e32 v41, v77, v41
	ds_write2_b32 v145, v31, v32 offset1:17
	v_pack_b32_f16 v31, v35, v60
	v_pack_b32_f16 v32, v51, v37
	v_lshrrev_b32_e32 v94, 16, v43
	v_fma_f16 v39, v39, 2.0, -v53
	v_fma_f16 v65, v77, 2.0, -v41
	v_sub_f16_e32 v54, v40, v54
	v_sub_f16_e32 v42, v82, v42
	;; [unrolled: 8-line block ×3, first 2 shown]
	ds_write2_b32 v147, v31, v32 offset1:17
	v_pack_b32_f16 v31, v39, v65
	v_pack_b32_f16 v32, v53, v41
	v_fma_f16 v43, v43, 2.0, -v55
	v_fma_f16 v75, v94, 2.0, -v45
	v_sub_f16_e32 v56, v44, v56
	v_sub_f16_e32 v46, v96, v46
	ds_write2_b32 v149, v31, v32 offset1:17
	v_pack_b32_f16 v31, v40, v74
	v_pack_b32_f16 v32, v54, v42
	v_fma_f16 v44, v44, 2.0, -v56
	v_fma_f16 v76, v96, 2.0, -v46
	ds_write2_b32 v163, v31, v32 offset1:17
	v_pack_b32_f16 v31, v43, v75
	v_pack_b32_f16 v32, v55, v45
	ds_write2_b32 v151, v31, v32 offset1:17
	v_pack_b32_f16 v31, v44, v76
	v_pack_b32_f16 v32, v56, v46
	ds_write2_b32 v152, v31, v32 offset1:17
	s_waitcnt lgkmcnt(0)
	s_barrier
	ds_read2_b32 v[31:32], v49 offset1:119
	ds_read2_b32 v[33:34], v24 offset0:56 offset1:175
	ds_read2_b32 v[37:38], v62 offset0:38 offset1:157
	;; [unrolled: 1-line block ×5, first 2 shown]
	s_waitcnt lgkmcnt(4)
	v_lshrrev_b32_e32 v50, 16, v33
	v_mul_f16_sdwa v65, v66, v50 dst_sel:DWORD dst_unused:UNUSED_PAD src0_sel:WORD_1 src1_sel:DWORD
	v_lshrrev_b32_e32 v52, 16, v34
	v_fma_f16 v65, v66, v33, v65
	v_mul_f16_sdwa v33, v66, v33 dst_sel:DWORD dst_unused:UNUSED_PAD src0_sel:WORD_1 src1_sel:DWORD
	v_fma_f16 v33, v66, v50, -v33
	v_mul_f16_sdwa v50, v67, v52 dst_sel:DWORD dst_unused:UNUSED_PAD src0_sel:WORD_1 src1_sel:DWORD
	s_waitcnt lgkmcnt(3)
	v_lshrrev_b32_e32 v54, 16, v37
	v_fma_f16 v50, v67, v34, v50
	v_mul_f16_sdwa v34, v67, v34 dst_sel:DWORD dst_unused:UNUSED_PAD src0_sel:WORD_1 src1_sel:DWORD
	v_fma_f16 v34, v67, v52, -v34
	v_mul_f16_sdwa v52, v68, v54 dst_sel:DWORD dst_unused:UNUSED_PAD src0_sel:WORD_1 src1_sel:DWORD
	v_lshrrev_b32_e32 v56, 16, v38
	v_fma_f16 v52, v68, v37, v52
	v_mul_f16_sdwa v37, v68, v37 dst_sel:DWORD dst_unused:UNUSED_PAD src0_sel:WORD_1 src1_sel:DWORD
	ds_read2_b32 v[43:44], v79 offset0:74 offset1:193
	ds_read2_b32 v[45:46], v80 offset0:130 offset1:249
	v_fma_f16 v37, v68, v54, -v37
	v_mul_f16_sdwa v54, v69, v56 dst_sel:DWORD dst_unused:UNUSED_PAD src0_sel:WORD_1 src1_sel:DWORD
	s_waitcnt lgkmcnt(4)
	v_lshrrev_b32_e32 v58, 16, v41
	v_fma_f16 v54, v69, v38, v54
	v_mul_f16_sdwa v38, v69, v38 dst_sel:DWORD dst_unused:UNUSED_PAD src0_sel:WORD_1 src1_sel:DWORD
	v_fma_f16 v38, v69, v56, -v38
	v_mul_f16_sdwa v56, v70, v58 dst_sel:DWORD dst_unused:UNUSED_PAD src0_sel:WORD_1 src1_sel:DWORD
	v_lshrrev_b32_e32 v24, 16, v31
	v_lshrrev_b32_e32 v60, 16, v42
	v_fma_f16 v56, v70, v41, v56
	v_mul_f16_sdwa v41, v70, v41 dst_sel:DWORD dst_unused:UNUSED_PAD src0_sel:WORD_1 src1_sel:DWORD
	v_lshrrev_b32_e32 v51, 16, v32
	v_fma_f16 v41, v70, v58, -v41
	v_mul_f16_sdwa v58, v71, v60 dst_sel:DWORD dst_unused:UNUSED_PAD src0_sel:WORD_1 src1_sel:DWORD
	v_sub_f16_e32 v65, v31, v65
	v_sub_f16_e32 v33, v24, v33
	s_waitcnt lgkmcnt(3)
	v_lshrrev_b32_e32 v53, 16, v35
	s_waitcnt lgkmcnt(0)
	v_lshrrev_b32_e32 v62, 16, v45
	v_fma_f16 v58, v71, v42, v58
	v_mul_f16_sdwa v42, v71, v42 dst_sel:DWORD dst_unused:UNUSED_PAD src0_sel:WORD_1 src1_sel:DWORD
	v_fma_f16 v31, v31, 2.0, -v65
	v_fma_f16 v24, v24, 2.0, -v33
	v_sub_f16_e32 v66, v32, v50
	v_sub_f16_e32 v34, v51, v34
	v_lshrrev_b32_e32 v55, 16, v36
	v_fma_f16 v42, v71, v60, -v42
	v_mul_f16_sdwa v60, v72, v62 dst_sel:DWORD dst_unused:UNUSED_PAD src0_sel:WORD_1 src1_sel:DWORD
	v_fma_f16 v32, v32, 2.0, -v66
	v_fma_f16 v67, v51, 2.0, -v34
	v_sub_f16_e32 v52, v35, v52
	v_sub_f16_e32 v37, v53, v37
	v_pack_b32_f16 v24, v31, v24
	v_pack_b32_f16 v31, v65, v33
	v_lshrrev_b32_e32 v57, 16, v39
	v_lshrrev_b32_e32 v64, 16, v46
	v_fma_f16 v60, v72, v45, v60
	v_mul_f16_sdwa v45, v72, v45 dst_sel:DWORD dst_unused:UNUSED_PAD src0_sel:WORD_1 src1_sel:DWORD
	v_fma_f16 v35, v35, 2.0, -v52
	v_fma_f16 v53, v53, 2.0, -v37
	v_sub_f16_e32 v54, v36, v54
	v_sub_f16_e32 v38, v55, v38
	s_barrier
	ds_write2_b32 v155, v24, v31 offset1:34
	v_pack_b32_f16 v24, v32, v67
	v_pack_b32_f16 v31, v66, v34
	v_lshrrev_b32_e32 v59, 16, v40
	v_fma_f16 v45, v72, v62, -v45
	v_mul_f16_sdwa v62, v73, v64 dst_sel:DWORD dst_unused:UNUSED_PAD src0_sel:WORD_1 src1_sel:DWORD
	v_fma_f16 v36, v36, 2.0, -v54
	v_fma_f16 v55, v55, 2.0, -v38
	v_sub_f16_e32 v56, v39, v56
	v_sub_f16_e32 v41, v57, v41
	ds_write2_b32 v156, v24, v31 offset1:34
	v_pack_b32_f16 v24, v35, v53
	v_pack_b32_f16 v31, v52, v37
	v_lshrrev_b32_e32 v61, 16, v43
	v_fma_f16 v62, v73, v46, v62
	v_mul_f16_sdwa v46, v73, v46 dst_sel:DWORD dst_unused:UNUSED_PAD src0_sel:WORD_1 src1_sel:DWORD
	v_fma_f16 v39, v39, 2.0, -v56
	v_fma_f16 v57, v57, 2.0, -v41
	v_sub_f16_e32 v58, v40, v58
	v_sub_f16_e32 v42, v59, v42
	ds_write2_b32 v157, v24, v31 offset1:34
	v_pack_b32_f16 v24, v36, v55
	v_pack_b32_f16 v31, v54, v38
	v_lshrrev_b32_e32 v63, 16, v44
	v_fma_f16 v64, v73, v64, -v46
	v_fma_f16 v40, v40, 2.0, -v58
	v_fma_f16 v59, v59, 2.0, -v42
	v_sub_f16_e32 v60, v43, v60
	v_sub_f16_e32 v68, v61, v45
	ds_write2_b32 v158, v24, v31 offset1:34
	v_pack_b32_f16 v24, v39, v57
	v_pack_b32_f16 v31, v56, v41
	v_fma_f16 v43, v43, 2.0, -v60
	v_fma_f16 v61, v61, 2.0, -v68
	v_sub_f16_e32 v46, v44, v62
	v_sub_f16_e32 v51, v63, v64
	ds_write2_b32 v159, v24, v31 offset1:34
	v_pack_b32_f16 v24, v40, v59
	v_pack_b32_f16 v31, v58, v42
	v_fma_f16 v45, v44, 2.0, -v46
	v_fma_f16 v50, v63, 2.0, -v51
	ds_write2_b32 v160, v24, v31 offset1:34
	v_pack_b32_f16 v24, v43, v61
	v_pack_b32_f16 v31, v60, v68
	ds_write2_b32 v165, v24, v31 offset1:34
	v_pack_b32_f16 v24, v45, v50
	v_pack_b32_f16 v31, v46, v51
	ds_write2_b32 v166, v24, v31 offset1:34
	v_add_u32_e32 v24, 0x400, v49
	s_waitcnt lgkmcnt(0)
	s_barrier
	ds_read2_b32 v[35:36], v24 offset0:16 offset1:135
	v_add_u32_e32 v24, 0x800, v49
	ds_read2_b32 v[37:38], v24 offset0:32 offset1:151
	v_add_u32_e32 v24, 0xc00, v49
	;; [unrolled: 2-line block ×4, first 2 shown]
	ds_read2_b32 v[31:32], v49 offset1:119
	ds_read2_b32 v[43:44], v24 offset0:80 offset1:199
	ds_read2_b32 v[33:34], v80 offset0:96 offset1:215
	s_and_saveexec_b64 s[2:3], s[0:1]
	s_cbranch_execz .LBB0_19
; %bb.18:
	ds_read_b32 v45, v49 offset:952
	ds_read_b32 v46, v49 offset:2040
	;; [unrolled: 1-line block ×7, first 2 shown]
	s_waitcnt lgkmcnt(6)
	v_lshrrev_b32_e32 v50, 16, v45
	s_waitcnt lgkmcnt(5)
	v_lshrrev_b32_e32 v51, 16, v46
	;; [unrolled: 2-line block ×7, first 2 shown]
.LBB0_19:
	s_or_b64 exec, exec, s[2:3]
	s_waitcnt lgkmcnt(6)
	v_lshrrev_b32_e32 v24, 16, v35
	v_mul_f16_sdwa v63, v4, v24 dst_sel:DWORD dst_unused:UNUSED_PAD src0_sel:WORD_1 src1_sel:DWORD
	s_waitcnt lgkmcnt(5)
	v_lshrrev_b32_e32 v52, 16, v37
	v_fma_f16 v63, v4, v35, v63
	v_mul_f16_sdwa v35, v4, v35 dst_sel:DWORD dst_unused:UNUSED_PAD src0_sel:WORD_1 src1_sel:DWORD
	s_waitcnt lgkmcnt(4)
	v_lshrrev_b32_e32 v53, 16, v39
	v_fma_f16 v4, v4, v24, -v35
	v_mul_f16_sdwa v24, v5, v52 dst_sel:DWORD dst_unused:UNUSED_PAD src0_sel:WORD_1 src1_sel:DWORD
	v_mul_f16_sdwa v35, v5, v37 dst_sel:DWORD dst_unused:UNUSED_PAD src0_sel:WORD_1 src1_sel:DWORD
	s_waitcnt lgkmcnt(3)
	v_lshrrev_b32_e32 v54, 16, v41
	v_fma_f16 v24, v5, v37, v24
	v_fma_f16 v5, v5, v52, -v35
	v_mul_f16_sdwa v35, v6, v53 dst_sel:DWORD dst_unused:UNUSED_PAD src0_sel:WORD_1 src1_sel:DWORD
	v_mul_f16_sdwa v37, v6, v39 dst_sel:DWORD dst_unused:UNUSED_PAD src0_sel:WORD_1 src1_sel:DWORD
	s_waitcnt lgkmcnt(1)
	v_lshrrev_b32_e32 v55, 16, v43
	v_fma_f16 v35, v6, v39, v35
	;; [unrolled: 6-line block ×3, first 2 shown]
	v_fma_f16 v7, v7, v54, -v39
	v_mul_f16_sdwa v39, v27, v55 dst_sel:DWORD dst_unused:UNUSED_PAD src0_sel:WORD_1 src1_sel:DWORD
	v_mul_f16_sdwa v41, v27, v43 dst_sel:DWORD dst_unused:UNUSED_PAD src0_sel:WORD_1 src1_sel:DWORD
	v_fma_f16 v39, v27, v43, v39
	v_fma_f16 v27, v27, v55, -v41
	v_mul_f16_sdwa v41, v28, v56 dst_sel:DWORD dst_unused:UNUSED_PAD src0_sel:WORD_1 src1_sel:DWORD
	v_lshrrev_b32_e32 v57, 16, v36
	v_fma_f16 v41, v28, v33, v41
	v_mul_f16_sdwa v33, v28, v33 dst_sel:DWORD dst_unused:UNUSED_PAD src0_sel:WORD_1 src1_sel:DWORD
	v_fma_f16 v28, v28, v56, -v33
	v_mul_f16_sdwa v33, v8, v57 dst_sel:DWORD dst_unused:UNUSED_PAD src0_sel:WORD_1 src1_sel:DWORD
	v_lshrrev_b32_e32 v58, 16, v38
	v_fma_f16 v33, v8, v36, v33
	v_mul_f16_sdwa v36, v8, v36 dst_sel:DWORD dst_unused:UNUSED_PAD src0_sel:WORD_1 src1_sel:DWORD
	;; [unrolled: 5-line block ×5, first 2 shown]
	v_lshrrev_b32_e32 v62, 16, v34
	v_fma_f16 v11, v11, v60, -v42
	v_mul_f16_sdwa v42, v29, v61 dst_sel:DWORD dst_unused:UNUSED_PAD src0_sel:WORD_1 src1_sel:DWORD
	v_mul_f16_sdwa v43, v29, v44 dst_sel:DWORD dst_unused:UNUSED_PAD src0_sel:WORD_1 src1_sel:DWORD
	v_fma_f16 v42, v29, v44, v42
	v_fma_f16 v29, v29, v61, -v43
	v_mul_f16_sdwa v43, v30, v62 dst_sel:DWORD dst_unused:UNUSED_PAD src0_sel:WORD_1 src1_sel:DWORD
	v_fma_f16 v43, v30, v34, v43
	v_mul_f16_sdwa v34, v30, v34 dst_sel:DWORD dst_unused:UNUSED_PAD src0_sel:WORD_1 src1_sel:DWORD
	v_fma_f16 v30, v30, v62, -v34
	v_add_f16_e32 v34, v63, v41
	v_add_f16_e32 v44, v4, v28
	v_sub_f16_e32 v4, v4, v28
	v_add_f16_e32 v28, v24, v39
	v_add_f16_e32 v52, v5, v27
	v_sub_f16_e32 v41, v63, v41
	v_sub_f16_e32 v24, v24, v39
	;; [unrolled: 1-line block ×3, first 2 shown]
	v_add_f16_e32 v27, v35, v37
	v_add_f16_e32 v39, v6, v7
	v_sub_f16_e32 v35, v37, v35
	v_sub_f16_e32 v6, v7, v6
	v_add_f16_e32 v7, v28, v34
	v_add_f16_e32 v37, v52, v44
	v_sub_f16_e32 v53, v28, v34
	v_sub_f16_e32 v54, v52, v44
	;; [unrolled: 1-line block ×6, first 2 shown]
	v_add_f16_e32 v55, v35, v24
	v_add_f16_e32 v56, v6, v5
	v_sub_f16_e32 v57, v35, v24
	v_sub_f16_e32 v58, v6, v5
	;; [unrolled: 1-line block ×4, first 2 shown]
	v_add_f16_e32 v7, v27, v7
	v_add_f16_e32 v27, v39, v37
	v_sub_f16_e32 v35, v41, v35
	v_sub_f16_e32 v6, v4, v6
	v_add_f16_e32 v37, v55, v41
	v_add_f16_e32 v4, v56, v4
	;; [unrolled: 1-line block ×3, first 2 shown]
	v_add_f16_sdwa v31, v31, v27 dst_sel:DWORD dst_unused:UNUSED_PAD src0_sel:WORD_1 src1_sel:DWORD
	v_mul_f16_e32 v34, 0x3a52, v34
	v_mul_f16_e32 v41, 0x3a52, v44
	s_movk_i32 s17, 0x2b26
	v_mul_f16_e32 v44, 0x2b26, v28
	v_mul_f16_e32 v55, 0x2b26, v52
	;; [unrolled: 1-line block ×4, first 2 shown]
	s_mov_b32 s4, 0xbb00
	v_mul_f16_e32 v58, 0xbb00, v24
	v_mul_f16_e32 v59, 0xbb00, v5
	s_mov_b32 s18, 0xbcab
	s_movk_i32 s5, 0x39e0
	s_mov_b32 s14, 0xb9e0
	s_mov_b32 s19, 0xb574
	s_movk_i32 s15, 0x3574
	v_fma_f16 v7, v7, s18, v39
	v_fma_f16 v27, v27, s18, v31
	;; [unrolled: 1-line block ×4, first 2 shown]
	v_fma_f16 v44, v53, s5, -v44
	v_fma_f16 v55, v54, s5, -v55
	;; [unrolled: 1-line block ×4, first 2 shown]
	v_fma_f16 v53, v35, s19, v56
	v_fma_f16 v54, v6, s19, v57
	v_fma_f16 v5, v5, s4, -v57
	v_fma_f16 v35, v35, s15, -v58
	v_fma_f16 v6, v6, s15, -v59
	s_mov_b32 s16, 0xb70e
	v_fma_f16 v24, v24, s4, -v56
	v_add_f16_e32 v28, v28, v7
	v_add_f16_e32 v52, v52, v27
	;; [unrolled: 1-line block ×6, first 2 shown]
	v_fma_f16 v34, v37, s16, v53
	v_fma_f16 v41, v4, s16, v54
	;; [unrolled: 1-line block ×6, first 2 shown]
	v_add_f16_e32 v6, v41, v28
	v_sub_f16_e32 v37, v52, v34
	v_add_f16_e32 v53, v4, v7
	v_sub_f16_e32 v54, v27, v35
	v_sub_f16_e32 v4, v7, v4
	v_add_f16_e32 v7, v35, v27
	v_sub_f16_e32 v27, v28, v41
	v_add_f16_e32 v28, v34, v52
	v_add_f16_e32 v34, v33, v43
	;; [unrolled: 1-line block ×3, first 2 shown]
	v_sub_f16_e32 v8, v8, v30
	v_add_f16_e32 v30, v36, v42
	v_add_f16_e32 v41, v9, v29
	v_sub_f16_e32 v36, v36, v42
	v_sub_f16_e32 v9, v9, v29
	v_add_f16_e32 v29, v38, v40
	v_add_f16_e32 v42, v10, v11
	v_sub_f16_e32 v38, v40, v38
	;; [unrolled: 4-line block ×3, first 2 shown]
	v_add_f16_e32 v57, v24, v55
	v_add_f16_e32 v5, v5, v44
	v_sub_f16_e32 v24, v55, v24
	v_sub_f16_e32 v33, v33, v43
	;; [unrolled: 1-line block ×8, first 2 shown]
	v_add_f16_e32 v52, v38, v36
	v_add_f16_e32 v55, v10, v9
	v_sub_f16_e32 v58, v38, v36
	v_sub_f16_e32 v59, v10, v9
	v_add_f16_e32 v11, v29, v11
	v_add_f16_e32 v29, v42, v40
	v_sub_f16_e32 v38, v33, v38
	v_sub_f16_e32 v10, v8, v10
	v_sub_f16_e32 v36, v36, v33
	v_sub_f16_e32 v9, v9, v8
	v_add_f16_e32 v33, v52, v33
	v_add_f16_e32 v8, v55, v8
	;; [unrolled: 1-line block ×3, first 2 shown]
	v_add_f16_sdwa v32, v32, v29 dst_sel:DWORD dst_unused:UNUSED_PAD src0_sel:WORD_1 src1_sel:DWORD
	v_mul_f16_e32 v34, 0x3a52, v34
	v_mul_f16_e32 v35, 0x3a52, v35
	v_mul_f16_e32 v42, 0x2b26, v30
	v_mul_f16_e32 v52, 0x2b26, v41
	v_mul_f16_e32 v55, 0x3846, v58
	v_mul_f16_e32 v58, 0x3846, v59
	v_pack_b32_f16 v31, v39, v31
	v_pack_b32_f16 v6, v6, v37
	v_mul_f16_e32 v59, 0xbb00, v36
	v_mul_f16_e32 v60, 0xbb00, v9
	v_fma_f16 v11, v11, s18, v40
	v_fma_f16 v29, v29, s18, v32
	;; [unrolled: 1-line block ×4, first 2 shown]
	v_fma_f16 v42, v43, s5, -v42
	v_fma_f16 v52, v44, s5, -v52
	;; [unrolled: 1-line block ×4, first 2 shown]
	v_fma_f16 v43, v38, s19, v55
	v_fma_f16 v44, v10, s19, v58
	s_barrier
	ds_write2_b32 v91, v31, v6 offset1:68
	v_pack_b32_f16 v6, v53, v54
	v_pack_b32_f16 v31, v56, v57
	v_fma_f16 v36, v36, s4, -v55
	v_fma_f16 v9, v9, s4, -v58
	;; [unrolled: 1-line block ×4, first 2 shown]
	v_add_f16_e32 v30, v30, v11
	v_add_f16_e32 v41, v41, v29
	;; [unrolled: 1-line block ×6, first 2 shown]
	v_fma_f16 v34, v33, s16, v43
	v_fma_f16 v35, v8, s16, v44
	ds_write2_b32 v91, v6, v31 offset0:136 offset1:204
	v_pack_b32_f16 v5, v5, v24
	v_pack_b32_f16 v4, v4, v7
	v_add_u32_e32 v6, 0x400, v91
	v_fma_f16 v36, v33, s16, v36
	v_fma_f16 v9, v8, s16, v9
	;; [unrolled: 1-line block ×4, first 2 shown]
	v_add_f16_e32 v10, v35, v30
	v_sub_f16_e32 v38, v41, v34
	ds_write2_b32 v6, v5, v4 offset0:16 offset1:84
	v_pack_b32_f16 v4, v27, v28
	v_add_f16_e32 v43, v8, v11
	v_sub_f16_e32 v44, v29, v33
	v_sub_f16_e32 v55, v42, v9
	v_add_f16_e32 v58, v36, v52
	ds_write_b32 v91, v4 offset:1632
	v_pack_b32_f16 v4, v40, v32
	v_pack_b32_f16 v5, v10, v38
	v_add_f16_e32 v9, v9, v42
	v_sub_f16_e32 v36, v52, v36
	v_sub_f16_e32 v8, v11, v8
	v_add_f16_e32 v11, v33, v29
	ds_write2_b32 v92, v4, v5 offset1:68
	v_pack_b32_f16 v4, v43, v44
	v_pack_b32_f16 v5, v55, v58
	v_sub_f16_e32 v29, v30, v35
	v_add_f16_e32 v30, v34, v41
	ds_write2_b32 v92, v4, v5 offset0:136 offset1:204
	v_pack_b32_f16 v4, v9, v36
	v_pack_b32_f16 v5, v8, v11
	v_add_u32_e32 v6, 0x400, v92
	ds_write2_b32 v6, v4, v5 offset0:16 offset1:84
	v_pack_b32_f16 v4, v29, v30
	ds_write_b32 v92, v4 offset:1632
	s_and_saveexec_b64 s[2:3], s[0:1]
	s_cbranch_execz .LBB0_21
; %bb.20:
	v_mul_f16_sdwa v5, v26, v171 dst_sel:DWORD dst_unused:UNUSED_PAD src0_sel:WORD_1 src1_sel:DWORD
	v_mul_f16_sdwa v8, v2, v168 dst_sel:DWORD dst_unused:UNUSED_PAD src0_sel:WORD_1 src1_sel:DWORD
	;; [unrolled: 1-line block ×7, first 2 shown]
	v_fma_f16 v5, v26, v89, v5
	v_mul_f16_sdwa v7, v3, v170 dst_sel:DWORD dst_unused:UNUSED_PAD src0_sel:WORD_1 src1_sel:DWORD
	v_fma_f16 v8, v2, v172, v8
	v_mul_f16_sdwa v11, v1, v108 dst_sel:DWORD dst_unused:UNUSED_PAD src0_sel:WORD_1 src1_sel:DWORD
	v_fma_f16 v24, v25, v85, v24
	v_fma_f16 v26, v26, v171, -v30
	v_mul_f16_sdwa v30, v0, v46 dst_sel:DWORD dst_unused:UNUSED_PAD src0_sel:WORD_1 src1_sel:DWORD
	v_fma_f16 v2, v2, v168, -v31
	v_mul_f16_sdwa v31, v3, v84 dst_sel:DWORD dst_unused:UNUSED_PAD src0_sel:WORD_1 src1_sel:DWORD
	v_fma_f16 v25, v25, v86, -v33
	v_mul_f16_sdwa v33, v1, v105 dst_sel:DWORD dst_unused:UNUSED_PAD src0_sel:WORD_1 src1_sel:DWORD
	v_fma_f16 v4, v0, v46, v4
	v_fma_f16 v7, v3, v84, v7
	;; [unrolled: 1-line block ×3, first 2 shown]
	v_fma_f16 v0, v0, v51, -v30
	v_fma_f16 v3, v3, v170, -v31
	;; [unrolled: 1-line block ×3, first 2 shown]
	v_sub_f16_e32 v6, v4, v5
	v_sub_f16_e32 v9, v7, v8
	;; [unrolled: 1-line block ×3, first 2 shown]
	v_add_f16_e32 v30, v26, v0
	v_add_f16_e32 v31, v2, v3
	;; [unrolled: 1-line block ×3, first 2 shown]
	v_sub_f16_e32 v0, v0, v26
	v_sub_f16_e32 v2, v3, v2
	;; [unrolled: 1-line block ×5, first 2 shown]
	v_add_f16_e32 v9, v9, v27
	v_add_f16_e32 v4, v5, v4
	;; [unrolled: 1-line block ×4, first 2 shown]
	v_sub_f16_e32 v3, v0, v2
	v_sub_f16_e32 v25, v2, v1
	v_add_f16_e32 v2, v2, v1
	v_add_f16_e32 v9, v9, v6
	;; [unrolled: 1-line block ×5, first 2 shown]
	v_sub_f16_e32 v6, v27, v6
	v_sub_f16_e32 v0, v1, v0
	v_mul_f16_e32 v28, 0x3846, v28
	v_sub_f16_e32 v32, v30, v31
	v_sub_f16_e32 v34, v31, v33
	v_add_f16_e32 v31, v31, v36
	v_sub_f16_e32 v7, v4, v5
	v_sub_f16_e32 v11, v5, v8
	v_add_f16_e32 v5, v5, v38
	v_mul_f16_e32 v25, 0x3846, v25
	v_mul_f16_e32 v27, 0xbb00, v6
	;; [unrolled: 1-line block ×3, first 2 shown]
	v_fma_f16 v29, v10, s19, v28
	v_mul_f16_e32 v32, 0x3a52, v32
	v_mul_f16_e32 v35, 0x2b26, v34
	v_add_f16_e32 v36, v50, v31
	v_mul_f16_e32 v7, 0x3a52, v7
	v_mul_f16_e32 v24, 0x2b26, v11
	v_add_f16_e32 v38, v45, v5
	v_fma_f16 v26, v3, s19, v25
	v_fma_f16 v10, v10, s15, -v27
	v_sub_f16_e32 v27, v33, v30
	v_sub_f16_e32 v4, v8, v4
	v_fma_f16 v1, v3, s15, -v1
	v_fma_f16 v0, v0, s4, -v25
	v_fma_f16 v31, v31, s18, v36
	v_fma_f16 v11, v11, s17, v7
	;; [unrolled: 1-line block ×4, first 2 shown]
	v_fma_f16 v30, v27, s14, -v32
	v_fma_f16 v7, v4, s14, -v7
	v_fma_f16 v1, v2, s16, v1
	v_fma_f16 v8, v27, s5, -v35
	v_fma_f16 v6, v6, s4, -v28
	v_fma_f16 v0, v2, s16, v0
	v_fma_f16 v2, v4, s5, -v24
	v_fma_f16 v10, v9, s16, v10
	v_add_f16_e32 v30, v30, v31
	v_add_f16_e32 v7, v7, v5
	;; [unrolled: 1-line block ×3, first 2 shown]
	v_fma_f16 v6, v9, s16, v6
	v_add_f16_e32 v2, v2, v5
	v_fma_f16 v34, v34, s17, v32
	v_add_f16_e32 v11, v11, v5
	v_sub_f16_e32 v3, v7, v1
	v_add_f16_e32 v4, v0, v2
	v_add_f16_e32 v5, v6, v8
	v_sub_f16_e32 v0, v2, v0
	v_sub_f16_e32 v2, v30, v10
	v_add_f16_e32 v1, v1, v7
	v_fma_f16 v29, v9, s16, v29
	v_add_f16_e32 v34, v34, v31
	v_add_f16_e32 v32, v10, v30
	v_sub_f16_e32 v9, v8, v6
	v_pack_b32_f16 v1, v1, v2
	v_pack_b32_f16 v0, v0, v5
	v_add_u32_e32 v2, 0x1800, v167
	v_add_f16_e32 v37, v29, v34
	v_sub_f16_e32 v39, v11, v26
	v_sub_f16_e32 v6, v34, v29
	v_add_f16_e32 v7, v26, v11
	ds_write2_b32 v2, v1, v0 offset0:28 offset1:96
	v_pack_b32_f16 v0, v4, v9
	v_pack_b32_f16 v1, v3, v32
	v_pack_b32_f16 v8, v38, v36
	v_pack_b32_f16 v6, v7, v6
	v_add_u32_e32 v7, 0x1400, v167
	ds_write2_b32 v2, v0, v1 offset0:164 offset1:232
	v_pack_b32_f16 v0, v39, v37
	ds_write2_b32 v7, v8, v6 offset0:148 offset1:216
	ds_write_b32 v167, v0 offset:7344
.LBB0_21:
	s_or_b64 exec, exec, s[2:3]
	v_add_u32_e32 v24, 0x600, v49
	s_waitcnt lgkmcnt(0)
	s_barrier
	ds_read2_b32 v[2:3], v24 offset0:92 offset1:211
	v_add_u32_e32 v29, 0xe00, v49
	ds_read2_b32 v[4:5], v29 offset0:56 offset1:175
	v_add_u32_e32 v30, 0x1600, v49
	ds_read2_b32 v[6:7], v30 offset0:20 offset1:139
	s_waitcnt lgkmcnt(2)
	v_lshrrev_b32_e32 v32, 16, v2
	v_mul_f16_sdwa v54, v12, v32 dst_sel:DWORD dst_unused:UNUSED_PAD src0_sel:WORD_1 src1_sel:DWORD
	s_waitcnt lgkmcnt(1)
	v_lshrrev_b32_e32 v33, 16, v4
	v_fma_f16 v54, v12, v2, v54
	v_mul_f16_sdwa v2, v12, v2 dst_sel:DWORD dst_unused:UNUSED_PAD src0_sel:WORD_1 src1_sel:DWORD
	v_fma_f16 v2, v12, v32, -v2
	v_mul_f16_sdwa v12, v13, v33 dst_sel:DWORD dst_unused:UNUSED_PAD src0_sel:WORD_1 src1_sel:DWORD
	s_waitcnt lgkmcnt(0)
	v_lshrrev_b32_e32 v34, 16, v6
	v_fma_f16 v12, v13, v4, v12
	v_mul_f16_sdwa v4, v13, v4 dst_sel:DWORD dst_unused:UNUSED_PAD src0_sel:WORD_1 src1_sel:DWORD
	v_fma_f16 v4, v13, v33, -v4
	v_mul_f16_sdwa v13, v14, v34 dst_sel:DWORD dst_unused:UNUSED_PAD src0_sel:WORD_1 src1_sel:DWORD
	v_lshrrev_b32_e32 v36, 16, v3
	v_add_u32_e32 v39, 0xa00, v49
	v_fma_f16 v13, v14, v6, v13
	v_mul_f16_sdwa v6, v14, v6 dst_sel:DWORD dst_unused:UNUSED_PAD src0_sel:WORD_1 src1_sel:DWORD
	ds_read2_b32 v[10:11], v39 offset0:74 offset1:193
	v_fma_f16 v6, v14, v34, -v6
	v_mul_f16_sdwa v14, v15, v36 dst_sel:DWORD dst_unused:UNUSED_PAD src0_sel:WORD_1 src1_sel:DWORD
	v_lshrrev_b32_e32 v37, 16, v5
	v_add_u32_e32 v40, 0x1200, v49
	v_fma_f16 v14, v15, v3, v14
	v_mul_f16_sdwa v3, v15, v3 dst_sel:DWORD dst_unused:UNUSED_PAD src0_sel:WORD_1 src1_sel:DWORD
	ds_read2_b32 v[25:26], v40 offset0:38 offset1:157
	v_fma_f16 v3, v15, v36, -v3
	v_mul_f16_sdwa v15, v16, v37 dst_sel:DWORD dst_unused:UNUSED_PAD src0_sel:WORD_1 src1_sel:DWORD
	v_add_u32_e32 v41, 0x1800, v49
	v_lshrrev_b32_e32 v42, 16, v7
	v_fma_f16 v15, v16, v5, v15
	v_mul_f16_sdwa v5, v16, v5 dst_sel:DWORD dst_unused:UNUSED_PAD src0_sel:WORD_1 src1_sel:DWORD
	ds_read2_b32 v[27:28], v41 offset0:130 offset1:249
	v_fma_f16 v5, v16, v37, -v5
	v_mul_f16_sdwa v16, v17, v42 dst_sel:DWORD dst_unused:UNUSED_PAD src0_sel:WORD_1 src1_sel:DWORD
	s_waitcnt lgkmcnt(2)
	v_lshrrev_b32_e32 v44, 16, v10
	v_fma_f16 v16, v17, v7, v16
	v_mul_f16_sdwa v7, v17, v7 dst_sel:DWORD dst_unused:UNUSED_PAD src0_sel:WORD_1 src1_sel:DWORD
	v_fma_f16 v7, v17, v42, -v7
	v_mul_f16_sdwa v17, v18, v44 dst_sel:DWORD dst_unused:UNUSED_PAD src0_sel:WORD_1 src1_sel:DWORD
	s_waitcnt lgkmcnt(1)
	v_lshrrev_b32_e32 v45, 16, v25
	v_fma_f16 v17, v18, v10, v17
	v_mul_f16_sdwa v10, v18, v10 dst_sel:DWORD dst_unused:UNUSED_PAD src0_sel:WORD_1 src1_sel:DWORD
	v_fma_f16 v10, v18, v44, -v10
	v_mul_f16_sdwa v18, v19, v45 dst_sel:DWORD dst_unused:UNUSED_PAD src0_sel:WORD_1 src1_sel:DWORD
	s_waitcnt lgkmcnt(0)
	v_lshrrev_b32_e32 v46, 16, v27
	v_fma_f16 v18, v19, v25, v18
	v_mul_f16_sdwa v25, v19, v25 dst_sel:DWORD dst_unused:UNUSED_PAD src0_sel:WORD_1 src1_sel:DWORD
	v_fma_f16 v19, v19, v45, -v25
	v_mul_f16_sdwa v25, v20, v46 dst_sel:DWORD dst_unused:UNUSED_PAD src0_sel:WORD_1 src1_sel:DWORD
	ds_read2_b32 v[0:1], v49 offset1:119
	v_lshrrev_b32_e32 v51, 16, v11
	v_fma_f16 v25, v20, v27, v25
	v_mul_f16_sdwa v27, v20, v27 dst_sel:DWORD dst_unused:UNUSED_PAD src0_sel:WORD_1 src1_sel:DWORD
	v_fma_f16 v20, v20, v46, -v27
	v_mul_f16_sdwa v27, v21, v51 dst_sel:DWORD dst_unused:UNUSED_PAD src0_sel:WORD_1 src1_sel:DWORD
	v_lshrrev_b32_e32 v52, 16, v26
	v_fma_f16 v27, v21, v11, v27
	v_mul_f16_sdwa v11, v21, v11 dst_sel:DWORD dst_unused:UNUSED_PAD src0_sel:WORD_1 src1_sel:DWORD
	v_add_u32_e32 v38, 0x200, v49
	v_fma_f16 v11, v21, v51, -v11
	v_mul_f16_sdwa v21, v22, v52 dst_sel:DWORD dst_unused:UNUSED_PAD src0_sel:WORD_1 src1_sel:DWORD
	ds_read2_b32 v[8:9], v38 offset0:110 offset1:229
	v_lshrrev_b32_e32 v53, 16, v28
	v_fma_f16 v21, v22, v26, v21
	v_mul_f16_sdwa v26, v22, v26 dst_sel:DWORD dst_unused:UNUSED_PAD src0_sel:WORD_1 src1_sel:DWORD
	s_waitcnt lgkmcnt(1)
	v_lshrrev_b32_e32 v31, 16, v0
	v_lshrrev_b32_e32 v35, 16, v1
	v_fma_f16 v22, v22, v52, -v26
	v_mul_f16_sdwa v26, v23, v53 dst_sel:DWORD dst_unused:UNUSED_PAD src0_sel:WORD_1 src1_sel:DWORD
	v_fma_f16 v26, v23, v28, v26
	v_mul_f16_sdwa v28, v23, v28 dst_sel:DWORD dst_unused:UNUSED_PAD src0_sel:WORD_1 src1_sel:DWORD
	v_sub_f16_e32 v12, v0, v12
	v_sub_f16_e32 v4, v31, v4
	;; [unrolled: 1-line block ×8, first 2 shown]
	v_fma_f16 v23, v23, v53, -v28
	v_fma_f16 v0, v0, 2.0, -v12
	v_fma_f16 v28, v31, 2.0, -v4
	;; [unrolled: 1-line block ×8, first 2 shown]
	v_sub_f16_e32 v31, v0, v31
	v_sub_f16_e32 v2, v28, v2
	;; [unrolled: 1-line block ×4, first 2 shown]
	s_waitcnt lgkmcnt(0)
	v_lshrrev_b32_e32 v43, 16, v8
	v_lshrrev_b32_e32 v50, 16, v9
	v_fma_f16 v0, v0, 2.0, -v31
	v_fma_f16 v28, v28, 2.0, -v2
	v_add_f16_e32 v6, v12, v6
	v_sub_f16_e32 v13, v4, v13
	v_fma_f16 v1, v1, 2.0, -v14
	v_fma_f16 v32, v32, 2.0, -v3
	v_add_f16_e32 v7, v15, v7
	v_sub_f16_e32 v16, v5, v16
	v_fma_f16 v12, v12, 2.0, -v6
	v_fma_f16 v4, v4, 2.0, -v13
	;; [unrolled: 1-line block ×4, first 2 shown]
	v_sub_f16_e32 v18, v8, v18
	v_sub_f16_e32 v19, v43, v19
	v_sub_f16_e32 v25, v17, v25
	v_sub_f16_e32 v20, v10, v20
	v_sub_f16_e32 v21, v9, v21
	v_sub_f16_e32 v22, v50, v22
	v_sub_f16_e32 v26, v27, v26
	v_sub_f16_e32 v23, v11, v23
	v_pack_b32_f16 v0, v0, v28
	v_pack_b32_f16 v1, v1, v32
	v_fma_f16 v8, v8, 2.0, -v18
	v_fma_f16 v33, v43, 2.0, -v19
	;; [unrolled: 1-line block ×8, first 2 shown]
	v_pack_b32_f16 v4, v12, v4
	ds_write2_b32 v49, v0, v1 offset1:119
	v_pack_b32_f16 v0, v15, v5
	v_sub_f16_e32 v17, v8, v17
	v_sub_f16_e32 v10, v33, v10
	;; [unrolled: 1-line block ×4, first 2 shown]
	v_pack_b32_f16 v2, v31, v2
	ds_write2_b32 v24, v4, v0 offset0:92 offset1:211
	v_pack_b32_f16 v0, v14, v3
	v_fma_f16 v8, v8, 2.0, -v17
	v_fma_f16 v33, v33, 2.0, -v10
	v_add_f16_e32 v20, v18, v20
	v_sub_f16_e32 v25, v19, v25
	v_fma_f16 v9, v9, 2.0, -v27
	v_fma_f16 v34, v34, 2.0, -v11
	v_add_f16_e32 v23, v21, v23
	v_sub_f16_e32 v26, v22, v26
	v_pack_b32_f16 v6, v6, v13
	ds_write2_b32 v29, v2, v0 offset0:56 offset1:175
	v_pack_b32_f16 v0, v7, v16
	v_fma_f16 v18, v18, 2.0, -v20
	v_fma_f16 v19, v19, 2.0, -v25
	;; [unrolled: 1-line block ×4, first 2 shown]
	ds_write2_b32 v30, v6, v0 offset0:20 offset1:139
	v_pack_b32_f16 v0, v8, v33
	v_pack_b32_f16 v4, v9, v34
	;; [unrolled: 1-line block ×3, first 2 shown]
	ds_write2_b32 v38, v0, v4 offset0:110 offset1:229
	v_pack_b32_f16 v0, v21, v22
	v_pack_b32_f16 v2, v17, v10
	ds_write2_b32 v39, v1, v0 offset0:74 offset1:193
	v_pack_b32_f16 v0, v27, v11
	v_pack_b32_f16 v3, v20, v25
	ds_write2_b32 v40, v2, v0 offset0:38 offset1:157
	v_pack_b32_f16 v0, v23, v26
	ds_write2_b32 v41, v3, v0 offset0:130 offset1:249
	s_waitcnt lgkmcnt(0)
	s_barrier
	s_and_b64 exec, exec, vcc
	s_cbranch_execz .LBB0_23
; %bb.22:
	global_load_dword v8, v48, s[6:7]
	v_mad_u64_u32 v[0:1], s[0:1], s10, v148, 0
	v_mov_b32_e32 v2, 0x7c00
	v_mad_u64_u32 v[3:4], s[0:1], s8, v47, 0
	v_mad_u64_u32 v[5:6], s[0:1], s11, v148, v[1:2]
	ds_read_b32 v9, v49
	s_mov_b32 s14, 0x1135c811
	v_mad_u64_u32 v[6:7], s[0:1], s9, v47, v[4:5]
	v_mov_b32_e32 v1, v5
	s_waitcnt lgkmcnt(0)
	v_lshrrev_b32_e32 v7, 16, v9
	v_mov_b32_e32 v4, v6
	v_lshlrev_b64 v[0:1], 2, v[0:1]
	s_mov_b32 s15, 0x3f4135c8
	v_mov_b32_e32 v11, s13
	s_movk_i32 s16, 0x1ff
	s_movk_i32 s10, 0xffe
	;; [unrolled: 1-line block ×3, first 2 shown]
	s_mov_b32 s17, 0x8000
	s_mul_i32 s11, s8, 0x1c0
	s_waitcnt vmcnt(0)
	v_mul_f16_sdwa v5, v7, v8 dst_sel:DWORD dst_unused:UNUSED_PAD src0_sel:DWORD src1_sel:WORD_1
	v_fma_f16 v5, v9, v8, v5
	v_mul_f16_sdwa v6, v9, v8 dst_sel:DWORD dst_unused:UNUSED_PAD src0_sel:DWORD src1_sel:WORD_1
	v_cvt_f32_f16_e32 v5, v5
	v_fma_f16 v6, v8, v7, -v6
	v_cvt_f32_f16_e32 v9, v6
	v_lshlrev_b64 v[7:8], 2, v[3:4]
	v_cvt_f64_f32_e32 v[5:6], v5
	v_add_co_u32_e32 v3, vcc, s12, v0
	v_cvt_f64_f32_e32 v[9:10], v9
	v_mul_f64 v[5:6], v[5:6], s[14:15]
	v_addc_co_u32_e32 v4, vcc, v11, v1, vcc
	v_mul_f64 v[0:1], v[9:10], s[14:15]
	v_add_co_u32_e32 v7, vcc, v3, v7
	v_addc_co_u32_e32 v8, vcc, v4, v8, vcc
	v_and_or_b32 v5, v6, s16, v5
	v_cmp_ne_u32_e32 vcc, 0, v5
	v_lshrrev_b32_e32 v9, 8, v6
	v_and_or_b32 v0, v1, s16, v0
	v_bfe_u32 v10, v6, 20, 11
	v_cndmask_b32_e64 v5, 0, 1, vcc
	v_cmp_ne_u32_e32 vcc, 0, v0
	v_lshrrev_b32_e32 v11, 8, v1
	v_bfe_u32 v12, v1, 20, 11
	v_sub_u32_e32 v13, 0x3f1, v10
	v_cndmask_b32_e64 v0, 0, 1, vcc
	v_and_or_b32 v5, v9, s10, v5
	v_sub_u32_e32 v14, 0x3f1, v12
	v_med3_i32 v9, v13, 0, 13
	v_and_or_b32 v0, v11, s10, v0
	v_or_b32_e32 v13, 0x1000, v5
	v_add_u32_e32 v10, 0xfffffc10, v10
	v_med3_i32 v11, v14, 0, 13
	v_cmp_ne_u32_e32 vcc, 0, v5
	v_or_b32_e32 v15, 0x1000, v0
	v_lshrrev_b32_e32 v17, v9, v13
	v_add_u32_e32 v12, 0xfffffc10, v12
	v_lshl_or_b32 v14, v10, 12, v5
	v_cndmask_b32_e64 v5, 0, 1, vcc
	v_cmp_ne_u32_e32 vcc, 0, v0
	v_lshrrev_b32_e32 v18, v11, v15
	v_lshlrev_b32_e32 v9, v9, v17
	v_lshl_or_b32 v16, v12, 12, v0
	v_cndmask_b32_e64 v0, 0, 1, vcc
	v_lshlrev_b32_e32 v11, v11, v18
	v_cmp_ne_u32_e32 vcc, v9, v13
	v_cndmask_b32_e64 v9, 0, 1, vcc
	v_cmp_ne_u32_e32 vcc, v11, v15
	v_cndmask_b32_e64 v11, 0, 1, vcc
	v_or_b32_e32 v9, v17, v9
	v_cmp_gt_i32_e32 vcc, 1, v10
	v_cndmask_b32_e32 v9, v14, v9, vcc
	v_or_b32_e32 v11, v18, v11
	v_cmp_gt_i32_e32 vcc, 1, v12
	v_and_b32_e32 v13, 7, v9
	v_cndmask_b32_e32 v11, v16, v11, vcc
	v_cmp_lt_i32_e32 vcc, 5, v13
	v_cmp_eq_u32_e64 s[0:1], 3, v13
	v_lshrrev_b32_e32 v9, 2, v9
	v_and_b32_e32 v14, 7, v11
	s_or_b64 vcc, s[0:1], vcc
	v_cmp_lt_i32_e64 s[2:3], 5, v14
	v_cmp_eq_u32_e64 s[4:5], 3, v14
	v_addc_co_u32_e32 v9, vcc, 0, v9, vcc
	v_lshrrev_b32_e32 v11, 2, v11
	s_or_b64 vcc, s[4:5], s[2:3]
	v_addc_co_u32_e32 v11, vcc, 0, v11, vcc
	v_cmp_gt_i32_e32 vcc, 31, v10
	v_cndmask_b32_e32 v9, v2, v9, vcc
	v_cmp_gt_i32_e32 vcc, 31, v12
	v_lshl_or_b32 v5, v5, 9, v2
	v_cndmask_b32_e32 v11, v2, v11, vcc
	v_cmp_eq_u32_e32 vcc, s18, v10
	v_lshrrev_b32_e32 v6, 16, v6
	v_lshl_or_b32 v0, v0, 9, v2
	v_cndmask_b32_e32 v5, v9, v5, vcc
	v_cmp_eq_u32_e32 vcc, s18, v12
	v_lshrrev_b32_e32 v1, 16, v1
	v_cndmask_b32_e32 v0, v11, v0, vcc
	v_and_or_b32 v5, v6, s17, v5
	v_and_or_b32 v0, v1, s17, v0
	v_and_b32_e32 v1, 0xffff, v5
	v_lshl_or_b32 v0, v0, 16, v1
	global_store_dword v[7:8], v0, off
	global_load_dword v5, v48, s[6:7] offset:448
	ds_read2_b32 v[0:1], v48 offset0:112 offset1:224
	s_mul_i32 s0, s9, 0x1c0
	s_mul_hi_u32 s12, s8, 0x1c0
	s_add_i32 s12, s12, s0
	v_add_co_u32_e32 v7, vcc, s11, v7
	s_waitcnt lgkmcnt(0)
	v_lshrrev_b32_e32 v6, 16, v0
	s_waitcnt vmcnt(0)
	v_mul_f16_sdwa v9, v6, v5 dst_sel:DWORD dst_unused:UNUSED_PAD src0_sel:DWORD src1_sel:WORD_1
	v_fma_f16 v9, v0, v5, v9
	v_mul_f16_sdwa v0, v0, v5 dst_sel:DWORD dst_unused:UNUSED_PAD src0_sel:DWORD src1_sel:WORD_1
	v_cvt_f32_f16_e32 v9, v9
	v_fma_f16 v0, v5, v6, -v0
	v_cvt_f32_f16_e32 v0, v0
	v_cvt_f64_f32_e32 v[5:6], v9
	v_cvt_f64_f32_e32 v[9:10], v0
	v_mov_b32_e32 v0, s12
	v_mul_f64 v[5:6], v[5:6], s[14:15]
	v_addc_co_u32_e32 v8, vcc, v8, v0, vcc
	v_mul_f64 v[9:10], v[9:10], s[14:15]
	v_and_or_b32 v0, v6, s16, v5
	v_cmp_ne_u32_e32 vcc, 0, v0
	v_lshrrev_b32_e32 v5, 8, v6
	v_and_or_b32 v9, v10, s16, v9
	v_bfe_u32 v11, v6, 20, 11
	v_cndmask_b32_e64 v0, 0, 1, vcc
	v_cmp_ne_u32_e32 vcc, 0, v9
	v_lshrrev_b32_e32 v12, 8, v10
	v_bfe_u32 v13, v10, 20, 11
	v_sub_u32_e32 v14, 0x3f1, v11
	v_cndmask_b32_e64 v9, 0, 1, vcc
	v_and_or_b32 v0, v5, s10, v0
	v_sub_u32_e32 v15, 0x3f1, v13
	v_med3_i32 v5, v14, 0, 13
	v_and_or_b32 v9, v12, s10, v9
	v_or_b32_e32 v14, 0x1000, v0
	v_add_u32_e32 v11, 0xfffffc10, v11
	v_med3_i32 v12, v15, 0, 13
	v_cmp_ne_u32_e32 vcc, 0, v0
	v_or_b32_e32 v16, 0x1000, v9
	v_lshrrev_b32_e32 v18, v5, v14
	v_add_u32_e32 v13, 0xfffffc10, v13
	v_lshl_or_b32 v15, v11, 12, v0
	v_cndmask_b32_e64 v0, 0, 1, vcc
	v_cmp_ne_u32_e32 vcc, 0, v9
	v_lshrrev_b32_e32 v19, v12, v16
	v_lshlrev_b32_e32 v5, v5, v18
	v_lshl_or_b32 v17, v13, 12, v9
	v_cndmask_b32_e64 v9, 0, 1, vcc
	v_lshlrev_b32_e32 v12, v12, v19
	v_cmp_ne_u32_e32 vcc, v5, v14
	v_cndmask_b32_e64 v5, 0, 1, vcc
	v_cmp_ne_u32_e32 vcc, v12, v16
	v_cndmask_b32_e64 v12, 0, 1, vcc
	v_or_b32_e32 v5, v18, v5
	v_cmp_gt_i32_e32 vcc, 1, v11
	v_cndmask_b32_e32 v5, v15, v5, vcc
	v_or_b32_e32 v12, v19, v12
	v_cmp_gt_i32_e32 vcc, 1, v13
	v_and_b32_e32 v14, 7, v5
	v_cndmask_b32_e32 v12, v17, v12, vcc
	v_cmp_lt_i32_e32 vcc, 5, v14
	v_cmp_eq_u32_e64 s[0:1], 3, v14
	v_lshrrev_b32_e32 v5, 2, v5
	v_and_b32_e32 v15, 7, v12
	s_or_b64 vcc, s[0:1], vcc
	v_cmp_lt_i32_e64 s[2:3], 5, v15
	v_cmp_eq_u32_e64 s[4:5], 3, v15
	v_addc_co_u32_e32 v5, vcc, 0, v5, vcc
	v_lshrrev_b32_e32 v12, 2, v12
	s_or_b64 vcc, s[4:5], s[2:3]
	v_addc_co_u32_e32 v12, vcc, 0, v12, vcc
	v_cmp_gt_i32_e32 vcc, 31, v11
	v_cndmask_b32_e32 v5, v2, v5, vcc
	v_cmp_gt_i32_e32 vcc, 31, v13
	v_lshl_or_b32 v0, v0, 9, v2
	v_cndmask_b32_e32 v12, v2, v12, vcc
	v_cmp_eq_u32_e32 vcc, s18, v11
	v_lshrrev_b32_e32 v6, 16, v6
	v_lshl_or_b32 v9, v9, 9, v2
	v_cndmask_b32_e32 v0, v5, v0, vcc
	v_cmp_eq_u32_e32 vcc, s18, v13
	v_lshrrev_b32_e32 v10, 16, v10
	v_cndmask_b32_e32 v5, v12, v9, vcc
	v_and_or_b32 v0, v6, s17, v0
	v_and_or_b32 v5, v10, s17, v5
	v_and_b32_e32 v0, 0xffff, v0
	v_lshl_or_b32 v0, v5, 16, v0
	global_store_dword v[7:8], v0, off
	global_load_dword v0, v48, s[6:7] offset:896
	v_lshrrev_b32_e32 v5, 16, v1
	v_mov_b32_e32 v9, s12
	v_add_co_u32_e32 v7, vcc, s11, v7
	v_addc_co_u32_e32 v8, vcc, v8, v9, vcc
	s_waitcnt vmcnt(0)
	v_mul_f16_sdwa v6, v5, v0 dst_sel:DWORD dst_unused:UNUSED_PAD src0_sel:DWORD src1_sel:WORD_1
	v_fma_f16 v6, v1, v0, v6
	v_mul_f16_sdwa v1, v1, v0 dst_sel:DWORD dst_unused:UNUSED_PAD src0_sel:DWORD src1_sel:WORD_1
	v_cvt_f32_f16_e32 v6, v6
	v_fma_f16 v0, v0, v5, -v1
	v_cvt_f32_f16_e32 v5, v0
	v_cvt_f64_f32_e32 v[0:1], v6
	v_cvt_f64_f32_e32 v[5:6], v5
	v_mul_f64 v[0:1], v[0:1], s[14:15]
	v_mul_f64 v[5:6], v[5:6], s[14:15]
	v_and_or_b32 v0, v1, s16, v0
	v_cmp_ne_u32_e32 vcc, 0, v0
	v_and_or_b32 v5, v6, s16, v5
	v_lshrrev_b32_e32 v9, 8, v1
	v_bfe_u32 v10, v1, 20, 11
	v_cndmask_b32_e64 v0, 0, 1, vcc
	v_cmp_ne_u32_e32 vcc, 0, v5
	v_lshrrev_b32_e32 v11, 8, v6
	v_bfe_u32 v12, v6, 20, 11
	v_sub_u32_e32 v13, 0x3f1, v10
	v_cndmask_b32_e64 v5, 0, 1, vcc
	v_and_or_b32 v0, v9, s10, v0
	v_sub_u32_e32 v14, 0x3f1, v12
	v_med3_i32 v9, v13, 0, 13
	v_and_or_b32 v5, v11, s10, v5
	v_or_b32_e32 v13, 0x1000, v0
	v_add_u32_e32 v10, 0xfffffc10, v10
	v_med3_i32 v11, v14, 0, 13
	v_cmp_ne_u32_e32 vcc, 0, v0
	v_or_b32_e32 v15, 0x1000, v5
	v_lshrrev_b32_e32 v17, v9, v13
	v_add_u32_e32 v12, 0xfffffc10, v12
	v_lshl_or_b32 v14, v10, 12, v0
	v_cndmask_b32_e64 v0, 0, 1, vcc
	v_cmp_ne_u32_e32 vcc, 0, v5
	v_lshrrev_b32_e32 v18, v11, v15
	v_lshlrev_b32_e32 v9, v9, v17
	v_lshl_or_b32 v16, v12, 12, v5
	v_cndmask_b32_e64 v5, 0, 1, vcc
	v_lshlrev_b32_e32 v11, v11, v18
	v_cmp_ne_u32_e32 vcc, v9, v13
	v_cndmask_b32_e64 v9, 0, 1, vcc
	v_cmp_ne_u32_e32 vcc, v11, v15
	v_cndmask_b32_e64 v11, 0, 1, vcc
	v_or_b32_e32 v9, v17, v9
	v_cmp_gt_i32_e32 vcc, 1, v10
	v_cndmask_b32_e32 v9, v14, v9, vcc
	v_or_b32_e32 v11, v18, v11
	v_cmp_gt_i32_e32 vcc, 1, v12
	v_and_b32_e32 v13, 7, v9
	v_cndmask_b32_e32 v11, v16, v11, vcc
	v_cmp_lt_i32_e32 vcc, 5, v13
	v_cmp_eq_u32_e64 s[0:1], 3, v13
	v_lshrrev_b32_e32 v9, 2, v9
	v_and_b32_e32 v14, 7, v11
	s_or_b64 vcc, s[0:1], vcc
	v_cmp_lt_i32_e64 s[2:3], 5, v14
	v_cmp_eq_u32_e64 s[4:5], 3, v14
	v_addc_co_u32_e32 v9, vcc, 0, v9, vcc
	v_lshrrev_b32_e32 v11, 2, v11
	s_or_b64 vcc, s[4:5], s[2:3]
	v_addc_co_u32_e32 v11, vcc, 0, v11, vcc
	v_cmp_gt_i32_e32 vcc, 31, v10
	v_cndmask_b32_e32 v9, v2, v9, vcc
	v_cmp_gt_i32_e32 vcc, 31, v12
	v_lshl_or_b32 v0, v0, 9, v2
	v_cndmask_b32_e32 v11, v2, v11, vcc
	v_cmp_eq_u32_e32 vcc, s18, v10
	v_lshrrev_b32_e32 v1, 16, v1
	v_lshl_or_b32 v5, v5, 9, v2
	v_cndmask_b32_e32 v0, v9, v0, vcc
	v_cmp_eq_u32_e32 vcc, s18, v12
	v_lshrrev_b32_e32 v6, 16, v6
	v_cndmask_b32_e32 v5, v11, v5, vcc
	v_and_or_b32 v0, v1, s17, v0
	v_and_or_b32 v1, v6, s17, v5
	v_and_b32_e32 v0, 0xffff, v0
	v_lshl_or_b32 v0, v1, 16, v0
	global_store_dword v[7:8], v0, off
	global_load_dword v5, v48, s[6:7] offset:1344
	v_add_u32_e32 v0, 0x400, v48
	ds_read2_b32 v[0:1], v0 offset0:80 offset1:192
	v_add_co_u32_e32 v7, vcc, s11, v7
	s_waitcnt lgkmcnt(0)
	v_lshrrev_b32_e32 v6, 16, v0
	s_waitcnt vmcnt(0)
	v_mul_f16_sdwa v9, v6, v5 dst_sel:DWORD dst_unused:UNUSED_PAD src0_sel:DWORD src1_sel:WORD_1
	v_fma_f16 v9, v0, v5, v9
	v_mul_f16_sdwa v0, v0, v5 dst_sel:DWORD dst_unused:UNUSED_PAD src0_sel:DWORD src1_sel:WORD_1
	v_cvt_f32_f16_e32 v9, v9
	v_fma_f16 v0, v5, v6, -v0
	v_cvt_f32_f16_e32 v0, v0
	v_cvt_f64_f32_e32 v[5:6], v9
	v_cvt_f64_f32_e32 v[9:10], v0
	v_mov_b32_e32 v0, s12
	v_mul_f64 v[5:6], v[5:6], s[14:15]
	v_addc_co_u32_e32 v8, vcc, v8, v0, vcc
	v_mul_f64 v[9:10], v[9:10], s[14:15]
	v_and_or_b32 v0, v6, s16, v5
	v_cmp_ne_u32_e32 vcc, 0, v0
	v_lshrrev_b32_e32 v5, 8, v6
	v_and_or_b32 v9, v10, s16, v9
	v_bfe_u32 v11, v6, 20, 11
	v_cndmask_b32_e64 v0, 0, 1, vcc
	v_cmp_ne_u32_e32 vcc, 0, v9
	v_lshrrev_b32_e32 v12, 8, v10
	v_bfe_u32 v13, v10, 20, 11
	v_sub_u32_e32 v14, 0x3f1, v11
	v_cndmask_b32_e64 v9, 0, 1, vcc
	v_and_or_b32 v0, v5, s10, v0
	v_sub_u32_e32 v15, 0x3f1, v13
	v_med3_i32 v5, v14, 0, 13
	v_and_or_b32 v9, v12, s10, v9
	v_or_b32_e32 v14, 0x1000, v0
	v_add_u32_e32 v11, 0xfffffc10, v11
	v_med3_i32 v12, v15, 0, 13
	v_cmp_ne_u32_e32 vcc, 0, v0
	v_or_b32_e32 v16, 0x1000, v9
	v_lshrrev_b32_e32 v18, v5, v14
	v_add_u32_e32 v13, 0xfffffc10, v13
	v_lshl_or_b32 v15, v11, 12, v0
	v_cndmask_b32_e64 v0, 0, 1, vcc
	v_cmp_ne_u32_e32 vcc, 0, v9
	v_lshrrev_b32_e32 v19, v12, v16
	v_lshlrev_b32_e32 v5, v5, v18
	v_lshl_or_b32 v17, v13, 12, v9
	v_cndmask_b32_e64 v9, 0, 1, vcc
	v_lshlrev_b32_e32 v12, v12, v19
	v_cmp_ne_u32_e32 vcc, v5, v14
	v_cndmask_b32_e64 v5, 0, 1, vcc
	v_cmp_ne_u32_e32 vcc, v12, v16
	v_cndmask_b32_e64 v12, 0, 1, vcc
	v_or_b32_e32 v5, v18, v5
	v_cmp_gt_i32_e32 vcc, 1, v11
	v_cndmask_b32_e32 v5, v15, v5, vcc
	v_or_b32_e32 v12, v19, v12
	v_cmp_gt_i32_e32 vcc, 1, v13
	v_and_b32_e32 v14, 7, v5
	v_cndmask_b32_e32 v12, v17, v12, vcc
	v_cmp_lt_i32_e32 vcc, 5, v14
	v_cmp_eq_u32_e64 s[0:1], 3, v14
	v_lshrrev_b32_e32 v5, 2, v5
	v_and_b32_e32 v15, 7, v12
	s_or_b64 vcc, s[0:1], vcc
	v_cmp_lt_i32_e64 s[2:3], 5, v15
	v_cmp_eq_u32_e64 s[4:5], 3, v15
	v_addc_co_u32_e32 v5, vcc, 0, v5, vcc
	v_lshrrev_b32_e32 v12, 2, v12
	s_or_b64 vcc, s[4:5], s[2:3]
	v_addc_co_u32_e32 v12, vcc, 0, v12, vcc
	v_cmp_gt_i32_e32 vcc, 31, v11
	v_cndmask_b32_e32 v5, v2, v5, vcc
	v_cmp_gt_i32_e32 vcc, 31, v13
	v_lshl_or_b32 v0, v0, 9, v2
	v_cndmask_b32_e32 v12, v2, v12, vcc
	v_cmp_eq_u32_e32 vcc, s18, v11
	v_lshrrev_b32_e32 v6, 16, v6
	v_lshl_or_b32 v9, v9, 9, v2
	v_cndmask_b32_e32 v0, v5, v0, vcc
	v_cmp_eq_u32_e32 vcc, s18, v13
	v_lshrrev_b32_e32 v10, 16, v10
	v_cndmask_b32_e32 v5, v12, v9, vcc
	v_and_or_b32 v0, v6, s17, v0
	v_and_or_b32 v5, v10, s17, v5
	v_and_b32_e32 v0, 0xffff, v0
	v_lshl_or_b32 v0, v5, 16, v0
	global_store_dword v[7:8], v0, off
	global_load_dword v0, v48, s[6:7] offset:1792
	v_lshrrev_b32_e32 v5, 16, v1
	v_mov_b32_e32 v9, s12
	v_add_co_u32_e32 v7, vcc, s11, v7
	v_addc_co_u32_e32 v8, vcc, v8, v9, vcc
	s_waitcnt vmcnt(0)
	v_mul_f16_sdwa v6, v5, v0 dst_sel:DWORD dst_unused:UNUSED_PAD src0_sel:DWORD src1_sel:WORD_1
	v_fma_f16 v6, v1, v0, v6
	v_mul_f16_sdwa v1, v1, v0 dst_sel:DWORD dst_unused:UNUSED_PAD src0_sel:DWORD src1_sel:WORD_1
	v_cvt_f32_f16_e32 v6, v6
	v_fma_f16 v0, v0, v5, -v1
	v_cvt_f32_f16_e32 v5, v0
	v_cvt_f64_f32_e32 v[0:1], v6
	v_cvt_f64_f32_e32 v[5:6], v5
	v_mul_f64 v[0:1], v[0:1], s[14:15]
	v_mul_f64 v[5:6], v[5:6], s[14:15]
	v_and_or_b32 v0, v1, s16, v0
	v_cmp_ne_u32_e32 vcc, 0, v0
	v_and_or_b32 v5, v6, s16, v5
	v_lshrrev_b32_e32 v9, 8, v1
	v_bfe_u32 v10, v1, 20, 11
	v_cndmask_b32_e64 v0, 0, 1, vcc
	v_cmp_ne_u32_e32 vcc, 0, v5
	v_lshrrev_b32_e32 v11, 8, v6
	v_bfe_u32 v12, v6, 20, 11
	v_sub_u32_e32 v13, 0x3f1, v10
	v_cndmask_b32_e64 v5, 0, 1, vcc
	v_and_or_b32 v0, v9, s10, v0
	v_sub_u32_e32 v14, 0x3f1, v12
	v_med3_i32 v9, v13, 0, 13
	v_and_or_b32 v5, v11, s10, v5
	v_or_b32_e32 v13, 0x1000, v0
	v_add_u32_e32 v10, 0xfffffc10, v10
	v_med3_i32 v11, v14, 0, 13
	v_cmp_ne_u32_e32 vcc, 0, v0
	v_or_b32_e32 v15, 0x1000, v5
	v_lshrrev_b32_e32 v17, v9, v13
	v_add_u32_e32 v12, 0xfffffc10, v12
	v_lshl_or_b32 v14, v10, 12, v0
	v_cndmask_b32_e64 v0, 0, 1, vcc
	v_cmp_ne_u32_e32 vcc, 0, v5
	v_lshrrev_b32_e32 v18, v11, v15
	v_lshlrev_b32_e32 v9, v9, v17
	v_lshl_or_b32 v16, v12, 12, v5
	v_cndmask_b32_e64 v5, 0, 1, vcc
	v_lshlrev_b32_e32 v11, v11, v18
	v_cmp_ne_u32_e32 vcc, v9, v13
	v_cndmask_b32_e64 v9, 0, 1, vcc
	v_cmp_ne_u32_e32 vcc, v11, v15
	v_cndmask_b32_e64 v11, 0, 1, vcc
	v_or_b32_e32 v9, v17, v9
	v_cmp_gt_i32_e32 vcc, 1, v10
	v_cndmask_b32_e32 v9, v14, v9, vcc
	v_or_b32_e32 v11, v18, v11
	v_cmp_gt_i32_e32 vcc, 1, v12
	v_and_b32_e32 v13, 7, v9
	v_cndmask_b32_e32 v11, v16, v11, vcc
	v_cmp_lt_i32_e32 vcc, 5, v13
	v_cmp_eq_u32_e64 s[0:1], 3, v13
	v_lshrrev_b32_e32 v9, 2, v9
	v_and_b32_e32 v14, 7, v11
	s_or_b64 vcc, s[0:1], vcc
	v_cmp_lt_i32_e64 s[2:3], 5, v14
	v_cmp_eq_u32_e64 s[4:5], 3, v14
	v_addc_co_u32_e32 v9, vcc, 0, v9, vcc
	v_lshrrev_b32_e32 v11, 2, v11
	s_or_b64 vcc, s[4:5], s[2:3]
	v_addc_co_u32_e32 v11, vcc, 0, v11, vcc
	v_cmp_gt_i32_e32 vcc, 31, v10
	v_cndmask_b32_e32 v9, v2, v9, vcc
	v_cmp_gt_i32_e32 vcc, 31, v12
	v_lshl_or_b32 v0, v0, 9, v2
	v_cndmask_b32_e32 v11, v2, v11, vcc
	v_cmp_eq_u32_e32 vcc, s18, v10
	v_lshrrev_b32_e32 v1, 16, v1
	v_lshl_or_b32 v5, v5, 9, v2
	v_cndmask_b32_e32 v0, v9, v0, vcc
	v_cmp_eq_u32_e32 vcc, s18, v12
	v_lshrrev_b32_e32 v6, 16, v6
	v_cndmask_b32_e32 v5, v11, v5, vcc
	v_and_or_b32 v0, v1, s17, v0
	v_and_or_b32 v1, v6, s17, v5
	v_and_b32_e32 v0, 0xffff, v0
	v_lshl_or_b32 v0, v1, 16, v0
	global_store_dword v[7:8], v0, off
	global_load_dword v5, v48, s[6:7] offset:2240
	v_add_u32_e32 v0, 0x800, v48
	ds_read2_b32 v[0:1], v0 offset0:48 offset1:160
	v_add_co_u32_e32 v7, vcc, s11, v7
	s_waitcnt lgkmcnt(0)
	v_lshrrev_b32_e32 v6, 16, v0
	s_waitcnt vmcnt(0)
	v_mul_f16_sdwa v9, v6, v5 dst_sel:DWORD dst_unused:UNUSED_PAD src0_sel:DWORD src1_sel:WORD_1
	v_fma_f16 v9, v0, v5, v9
	v_mul_f16_sdwa v0, v0, v5 dst_sel:DWORD dst_unused:UNUSED_PAD src0_sel:DWORD src1_sel:WORD_1
	v_cvt_f32_f16_e32 v9, v9
	v_fma_f16 v0, v5, v6, -v0
	v_cvt_f32_f16_e32 v0, v0
	v_cvt_f64_f32_e32 v[5:6], v9
	v_cvt_f64_f32_e32 v[9:10], v0
	v_mov_b32_e32 v0, s12
	v_mul_f64 v[5:6], v[5:6], s[14:15]
	v_addc_co_u32_e32 v8, vcc, v8, v0, vcc
	v_mul_f64 v[9:10], v[9:10], s[14:15]
	v_and_or_b32 v0, v6, s16, v5
	v_cmp_ne_u32_e32 vcc, 0, v0
	v_lshrrev_b32_e32 v5, 8, v6
	v_and_or_b32 v9, v10, s16, v9
	v_bfe_u32 v11, v6, 20, 11
	v_cndmask_b32_e64 v0, 0, 1, vcc
	v_cmp_ne_u32_e32 vcc, 0, v9
	v_lshrrev_b32_e32 v12, 8, v10
	v_bfe_u32 v13, v10, 20, 11
	v_sub_u32_e32 v14, 0x3f1, v11
	v_cndmask_b32_e64 v9, 0, 1, vcc
	v_and_or_b32 v0, v5, s10, v0
	v_sub_u32_e32 v15, 0x3f1, v13
	v_med3_i32 v5, v14, 0, 13
	v_and_or_b32 v9, v12, s10, v9
	v_or_b32_e32 v14, 0x1000, v0
	v_add_u32_e32 v11, 0xfffffc10, v11
	v_med3_i32 v12, v15, 0, 13
	v_cmp_ne_u32_e32 vcc, 0, v0
	v_or_b32_e32 v16, 0x1000, v9
	v_lshrrev_b32_e32 v18, v5, v14
	v_add_u32_e32 v13, 0xfffffc10, v13
	v_lshl_or_b32 v15, v11, 12, v0
	v_cndmask_b32_e64 v0, 0, 1, vcc
	v_cmp_ne_u32_e32 vcc, 0, v9
	v_lshrrev_b32_e32 v19, v12, v16
	v_lshlrev_b32_e32 v5, v5, v18
	v_lshl_or_b32 v17, v13, 12, v9
	v_cndmask_b32_e64 v9, 0, 1, vcc
	v_lshlrev_b32_e32 v12, v12, v19
	v_cmp_ne_u32_e32 vcc, v5, v14
	v_cndmask_b32_e64 v5, 0, 1, vcc
	v_cmp_ne_u32_e32 vcc, v12, v16
	v_cndmask_b32_e64 v12, 0, 1, vcc
	v_or_b32_e32 v5, v18, v5
	v_cmp_gt_i32_e32 vcc, 1, v11
	v_cndmask_b32_e32 v5, v15, v5, vcc
	v_or_b32_e32 v12, v19, v12
	v_cmp_gt_i32_e32 vcc, 1, v13
	v_and_b32_e32 v14, 7, v5
	v_cndmask_b32_e32 v12, v17, v12, vcc
	v_cmp_lt_i32_e32 vcc, 5, v14
	v_cmp_eq_u32_e64 s[0:1], 3, v14
	v_lshrrev_b32_e32 v5, 2, v5
	v_and_b32_e32 v15, 7, v12
	s_or_b64 vcc, s[0:1], vcc
	v_cmp_lt_i32_e64 s[2:3], 5, v15
	v_cmp_eq_u32_e64 s[4:5], 3, v15
	v_addc_co_u32_e32 v5, vcc, 0, v5, vcc
	v_lshrrev_b32_e32 v12, 2, v12
	s_or_b64 vcc, s[4:5], s[2:3]
	v_addc_co_u32_e32 v12, vcc, 0, v12, vcc
	v_cmp_gt_i32_e32 vcc, 31, v11
	v_cndmask_b32_e32 v5, v2, v5, vcc
	v_cmp_gt_i32_e32 vcc, 31, v13
	v_lshl_or_b32 v0, v0, 9, v2
	v_cndmask_b32_e32 v12, v2, v12, vcc
	v_cmp_eq_u32_e32 vcc, s18, v11
	v_lshrrev_b32_e32 v6, 16, v6
	v_lshl_or_b32 v9, v9, 9, v2
	v_cndmask_b32_e32 v0, v5, v0, vcc
	v_cmp_eq_u32_e32 vcc, s18, v13
	v_lshrrev_b32_e32 v10, 16, v10
	v_cndmask_b32_e32 v5, v12, v9, vcc
	v_and_or_b32 v0, v6, s17, v0
	v_and_or_b32 v5, v10, s17, v5
	v_and_b32_e32 v0, 0xffff, v0
	v_lshl_or_b32 v0, v5, 16, v0
	global_store_dword v[7:8], v0, off
	global_load_dword v0, v48, s[6:7] offset:2688
	v_lshrrev_b32_e32 v5, 16, v1
	v_mov_b32_e32 v9, s12
	v_add_co_u32_e32 v7, vcc, s11, v7
	v_addc_co_u32_e32 v8, vcc, v8, v9, vcc
	s_waitcnt vmcnt(0)
	v_mul_f16_sdwa v6, v5, v0 dst_sel:DWORD dst_unused:UNUSED_PAD src0_sel:DWORD src1_sel:WORD_1
	v_fma_f16 v6, v1, v0, v6
	v_mul_f16_sdwa v1, v1, v0 dst_sel:DWORD dst_unused:UNUSED_PAD src0_sel:DWORD src1_sel:WORD_1
	v_cvt_f32_f16_e32 v6, v6
	v_fma_f16 v0, v0, v5, -v1
	v_cvt_f32_f16_e32 v5, v0
	v_cvt_f64_f32_e32 v[0:1], v6
	v_cvt_f64_f32_e32 v[5:6], v5
	v_mul_f64 v[0:1], v[0:1], s[14:15]
	v_mul_f64 v[5:6], v[5:6], s[14:15]
	v_and_or_b32 v0, v1, s16, v0
	v_cmp_ne_u32_e32 vcc, 0, v0
	v_and_or_b32 v5, v6, s16, v5
	v_lshrrev_b32_e32 v9, 8, v1
	v_bfe_u32 v10, v1, 20, 11
	v_cndmask_b32_e64 v0, 0, 1, vcc
	v_cmp_ne_u32_e32 vcc, 0, v5
	v_lshrrev_b32_e32 v11, 8, v6
	v_bfe_u32 v12, v6, 20, 11
	v_sub_u32_e32 v13, 0x3f1, v10
	v_cndmask_b32_e64 v5, 0, 1, vcc
	v_and_or_b32 v0, v9, s10, v0
	v_sub_u32_e32 v14, 0x3f1, v12
	v_med3_i32 v9, v13, 0, 13
	v_and_or_b32 v5, v11, s10, v5
	v_or_b32_e32 v13, 0x1000, v0
	v_add_u32_e32 v10, 0xfffffc10, v10
	v_med3_i32 v11, v14, 0, 13
	v_cmp_ne_u32_e32 vcc, 0, v0
	v_or_b32_e32 v15, 0x1000, v5
	v_lshrrev_b32_e32 v17, v9, v13
	v_add_u32_e32 v12, 0xfffffc10, v12
	v_lshl_or_b32 v14, v10, 12, v0
	v_cndmask_b32_e64 v0, 0, 1, vcc
	v_cmp_ne_u32_e32 vcc, 0, v5
	v_lshrrev_b32_e32 v18, v11, v15
	v_lshlrev_b32_e32 v9, v9, v17
	v_lshl_or_b32 v16, v12, 12, v5
	v_cndmask_b32_e64 v5, 0, 1, vcc
	v_lshlrev_b32_e32 v11, v11, v18
	v_cmp_ne_u32_e32 vcc, v9, v13
	v_cndmask_b32_e64 v9, 0, 1, vcc
	v_cmp_ne_u32_e32 vcc, v11, v15
	v_cndmask_b32_e64 v11, 0, 1, vcc
	v_or_b32_e32 v9, v17, v9
	v_cmp_gt_i32_e32 vcc, 1, v10
	v_cndmask_b32_e32 v9, v14, v9, vcc
	v_or_b32_e32 v11, v18, v11
	v_cmp_gt_i32_e32 vcc, 1, v12
	v_and_b32_e32 v13, 7, v9
	v_cndmask_b32_e32 v11, v16, v11, vcc
	v_cmp_lt_i32_e32 vcc, 5, v13
	v_cmp_eq_u32_e64 s[0:1], 3, v13
	v_lshrrev_b32_e32 v9, 2, v9
	v_and_b32_e32 v14, 7, v11
	s_or_b64 vcc, s[0:1], vcc
	v_cmp_lt_i32_e64 s[2:3], 5, v14
	v_cmp_eq_u32_e64 s[4:5], 3, v14
	v_addc_co_u32_e32 v9, vcc, 0, v9, vcc
	v_lshrrev_b32_e32 v11, 2, v11
	s_or_b64 vcc, s[4:5], s[2:3]
	v_addc_co_u32_e32 v11, vcc, 0, v11, vcc
	v_cmp_gt_i32_e32 vcc, 31, v10
	v_cndmask_b32_e32 v9, v2, v9, vcc
	v_cmp_gt_i32_e32 vcc, 31, v12
	v_lshl_or_b32 v0, v0, 9, v2
	v_cndmask_b32_e32 v11, v2, v11, vcc
	v_cmp_eq_u32_e32 vcc, s18, v10
	v_lshrrev_b32_e32 v1, 16, v1
	v_lshl_or_b32 v5, v5, 9, v2
	v_cndmask_b32_e32 v0, v9, v0, vcc
	v_cmp_eq_u32_e32 vcc, s18, v12
	v_lshrrev_b32_e32 v6, 16, v6
	v_cndmask_b32_e32 v5, v11, v5, vcc
	v_and_or_b32 v0, v1, s17, v0
	v_and_or_b32 v1, v6, s17, v5
	v_and_b32_e32 v0, 0xffff, v0
	v_lshl_or_b32 v0, v1, 16, v0
	global_store_dword v[7:8], v0, off
	global_load_dword v5, v48, s[6:7] offset:3136
	v_add_u32_e32 v0, 0xc00, v48
	ds_read2_b32 v[0:1], v0 offset0:16 offset1:128
	v_add_co_u32_e32 v7, vcc, s11, v7
	s_waitcnt lgkmcnt(0)
	v_lshrrev_b32_e32 v6, 16, v0
	s_waitcnt vmcnt(0)
	v_mul_f16_sdwa v9, v6, v5 dst_sel:DWORD dst_unused:UNUSED_PAD src0_sel:DWORD src1_sel:WORD_1
	v_fma_f16 v9, v0, v5, v9
	v_mul_f16_sdwa v0, v0, v5 dst_sel:DWORD dst_unused:UNUSED_PAD src0_sel:DWORD src1_sel:WORD_1
	v_cvt_f32_f16_e32 v9, v9
	v_fma_f16 v0, v5, v6, -v0
	v_cvt_f32_f16_e32 v0, v0
	v_cvt_f64_f32_e32 v[5:6], v9
	v_cvt_f64_f32_e32 v[9:10], v0
	v_mov_b32_e32 v0, s12
	v_mul_f64 v[5:6], v[5:6], s[14:15]
	v_addc_co_u32_e32 v8, vcc, v8, v0, vcc
	v_mul_f64 v[9:10], v[9:10], s[14:15]
	v_and_or_b32 v0, v6, s16, v5
	v_cmp_ne_u32_e32 vcc, 0, v0
	v_lshrrev_b32_e32 v5, 8, v6
	v_and_or_b32 v9, v10, s16, v9
	v_bfe_u32 v11, v6, 20, 11
	v_cndmask_b32_e64 v0, 0, 1, vcc
	v_cmp_ne_u32_e32 vcc, 0, v9
	v_lshrrev_b32_e32 v12, 8, v10
	v_bfe_u32 v13, v10, 20, 11
	v_sub_u32_e32 v14, 0x3f1, v11
	v_cndmask_b32_e64 v9, 0, 1, vcc
	v_and_or_b32 v0, v5, s10, v0
	v_sub_u32_e32 v15, 0x3f1, v13
	v_med3_i32 v5, v14, 0, 13
	v_and_or_b32 v9, v12, s10, v9
	v_or_b32_e32 v14, 0x1000, v0
	v_add_u32_e32 v11, 0xfffffc10, v11
	v_med3_i32 v12, v15, 0, 13
	v_cmp_ne_u32_e32 vcc, 0, v0
	v_or_b32_e32 v16, 0x1000, v9
	v_lshrrev_b32_e32 v18, v5, v14
	v_add_u32_e32 v13, 0xfffffc10, v13
	v_lshl_or_b32 v15, v11, 12, v0
	v_cndmask_b32_e64 v0, 0, 1, vcc
	v_cmp_ne_u32_e32 vcc, 0, v9
	v_lshrrev_b32_e32 v19, v12, v16
	v_lshlrev_b32_e32 v5, v5, v18
	v_lshl_or_b32 v17, v13, 12, v9
	v_cndmask_b32_e64 v9, 0, 1, vcc
	v_lshlrev_b32_e32 v12, v12, v19
	v_cmp_ne_u32_e32 vcc, v5, v14
	v_cndmask_b32_e64 v5, 0, 1, vcc
	v_cmp_ne_u32_e32 vcc, v12, v16
	v_cndmask_b32_e64 v12, 0, 1, vcc
	v_or_b32_e32 v5, v18, v5
	v_cmp_gt_i32_e32 vcc, 1, v11
	v_cndmask_b32_e32 v5, v15, v5, vcc
	v_or_b32_e32 v12, v19, v12
	v_cmp_gt_i32_e32 vcc, 1, v13
	v_and_b32_e32 v14, 7, v5
	v_cndmask_b32_e32 v12, v17, v12, vcc
	v_cmp_lt_i32_e32 vcc, 5, v14
	v_cmp_eq_u32_e64 s[0:1], 3, v14
	v_lshrrev_b32_e32 v5, 2, v5
	v_and_b32_e32 v15, 7, v12
	s_or_b64 vcc, s[0:1], vcc
	v_cmp_lt_i32_e64 s[2:3], 5, v15
	v_cmp_eq_u32_e64 s[4:5], 3, v15
	v_addc_co_u32_e32 v5, vcc, 0, v5, vcc
	v_lshrrev_b32_e32 v12, 2, v12
	s_or_b64 vcc, s[4:5], s[2:3]
	v_addc_co_u32_e32 v12, vcc, 0, v12, vcc
	v_cmp_gt_i32_e32 vcc, 31, v11
	v_cndmask_b32_e32 v5, v2, v5, vcc
	v_cmp_gt_i32_e32 vcc, 31, v13
	v_lshl_or_b32 v0, v0, 9, v2
	v_cndmask_b32_e32 v12, v2, v12, vcc
	v_cmp_eq_u32_e32 vcc, s18, v11
	v_lshrrev_b32_e32 v6, 16, v6
	v_lshl_or_b32 v9, v9, 9, v2
	v_cndmask_b32_e32 v0, v5, v0, vcc
	v_cmp_eq_u32_e32 vcc, s18, v13
	v_lshrrev_b32_e32 v10, 16, v10
	v_cndmask_b32_e32 v5, v12, v9, vcc
	v_and_or_b32 v0, v6, s17, v0
	v_and_or_b32 v5, v10, s17, v5
	v_and_b32_e32 v0, 0xffff, v0
	v_lshl_or_b32 v0, v5, 16, v0
	global_store_dword v[7:8], v0, off
	global_load_dword v9, v48, s[6:7] offset:3584
	v_or_b32_e32 v11, 0x380, v47
	v_mad_u64_u32 v[5:6], s[0:1], s8, v11, 0
	v_mov_b32_e32 v0, v6
	v_lshrrev_b32_e32 v6, 16, v1
	s_waitcnt vmcnt(0)
	v_mul_f16_sdwa v10, v6, v9 dst_sel:DWORD dst_unused:UNUSED_PAD src0_sel:DWORD src1_sel:WORD_1
	v_fma_f16 v10, v1, v9, v10
	v_mul_f16_sdwa v1, v1, v9 dst_sel:DWORD dst_unused:UNUSED_PAD src0_sel:DWORD src1_sel:WORD_1
	v_cvt_f32_f16_e32 v10, v10
	v_fma_f16 v1, v9, v6, -v1
	v_cvt_f32_f16_e32 v6, v1
	v_mad_u64_u32 v[0:1], s[0:1], s9, v11, v[0:1]
	v_cvt_f64_f32_e32 v[9:10], v10
	v_cvt_f64_f32_e32 v[11:12], v6
	v_mov_b32_e32 v6, v0
	v_lshlrev_b64 v[0:1], 2, v[5:6]
	v_mul_f64 v[9:10], v[9:10], s[14:15]
	v_mul_f64 v[5:6], v[11:12], s[14:15]
	v_add_co_u32_e32 v0, vcc, v3, v0
	v_addc_co_u32_e32 v1, vcc, v4, v1, vcc
	v_and_or_b32 v9, v10, s16, v9
	v_and_or_b32 v5, v6, s16, v5
	v_cmp_ne_u32_e32 vcc, 0, v9
	v_lshrrev_b32_e32 v11, 8, v10
	v_bfe_u32 v12, v10, 20, 11
	v_cndmask_b32_e64 v9, 0, 1, vcc
	v_cmp_ne_u32_e32 vcc, 0, v5
	v_lshrrev_b32_e32 v13, 8, v6
	v_bfe_u32 v14, v6, 20, 11
	v_sub_u32_e32 v15, 0x3f1, v12
	v_cndmask_b32_e64 v5, 0, 1, vcc
	v_and_or_b32 v9, v11, s10, v9
	v_sub_u32_e32 v16, 0x3f1, v14
	v_med3_i32 v11, v15, 0, 13
	v_and_or_b32 v5, v13, s10, v5
	v_or_b32_e32 v15, 0x1000, v9
	v_add_u32_e32 v12, 0xfffffc10, v12
	v_med3_i32 v13, v16, 0, 13
	v_cmp_ne_u32_e32 vcc, 0, v9
	v_or_b32_e32 v17, 0x1000, v5
	v_lshrrev_b32_e32 v19, v11, v15
	v_add_u32_e32 v14, 0xfffffc10, v14
	v_lshl_or_b32 v16, v12, 12, v9
	v_cndmask_b32_e64 v9, 0, 1, vcc
	v_cmp_ne_u32_e32 vcc, 0, v5
	v_lshrrev_b32_e32 v20, v13, v17
	v_lshlrev_b32_e32 v11, v11, v19
	v_lshl_or_b32 v18, v14, 12, v5
	v_cndmask_b32_e64 v5, 0, 1, vcc
	v_lshlrev_b32_e32 v13, v13, v20
	v_cmp_ne_u32_e32 vcc, v11, v15
	v_cndmask_b32_e64 v11, 0, 1, vcc
	v_cmp_ne_u32_e32 vcc, v13, v17
	v_cndmask_b32_e64 v13, 0, 1, vcc
	v_or_b32_e32 v11, v19, v11
	v_cmp_gt_i32_e32 vcc, 1, v12
	v_cndmask_b32_e32 v11, v16, v11, vcc
	v_or_b32_e32 v13, v20, v13
	v_cmp_gt_i32_e32 vcc, 1, v14
	v_and_b32_e32 v15, 7, v11
	v_cndmask_b32_e32 v13, v18, v13, vcc
	v_cmp_lt_i32_e32 vcc, 5, v15
	v_cmp_eq_u32_e64 s[0:1], 3, v15
	v_lshrrev_b32_e32 v11, 2, v11
	v_and_b32_e32 v16, 7, v13
	s_or_b64 vcc, s[0:1], vcc
	v_cmp_lt_i32_e64 s[2:3], 5, v16
	v_cmp_eq_u32_e64 s[4:5], 3, v16
	v_addc_co_u32_e32 v11, vcc, 0, v11, vcc
	v_lshrrev_b32_e32 v13, 2, v13
	s_or_b64 vcc, s[4:5], s[2:3]
	v_addc_co_u32_e32 v13, vcc, 0, v13, vcc
	v_cmp_gt_i32_e32 vcc, 31, v12
	v_cndmask_b32_e32 v11, v2, v11, vcc
	v_cmp_gt_i32_e32 vcc, 31, v14
	v_lshl_or_b32 v9, v9, 9, v2
	v_cndmask_b32_e32 v13, v2, v13, vcc
	v_cmp_eq_u32_e32 vcc, s18, v12
	v_lshrrev_b32_e32 v10, 16, v10
	v_lshl_or_b32 v5, v5, 9, v2
	v_cndmask_b32_e32 v9, v11, v9, vcc
	v_cmp_eq_u32_e32 vcc, s18, v14
	v_lshrrev_b32_e32 v6, 16, v6
	v_cndmask_b32_e32 v5, v13, v5, vcc
	v_and_or_b32 v9, v10, s17, v9
	v_and_or_b32 v5, v6, s17, v5
	v_and_b32_e32 v6, 0xffff, v9
	v_lshl_or_b32 v5, v5, 16, v6
	global_store_dword v[0:1], v5, off
	global_load_dword v0, v48, s[6:7] offset:4032
	v_add_u32_e32 v1, 0xe00, v48
	ds_read2_b32 v[5:6], v1 offset0:112 offset1:224
	v_mov_b32_e32 v9, s7
	v_add_co_u32_e32 v14, vcc, s6, v48
	v_addc_co_u32_e32 v15, vcc, 0, v9, vcc
	s_waitcnt lgkmcnt(0)
	v_lshrrev_b32_e32 v1, 16, v5
	s_movk_i32 s2, 0x1000
	v_mov_b32_e32 v13, 0x380
	v_mad_u64_u32 v[7:8], s[0:1], s8, v13, v[7:8]
	s_mul_i32 s3, s9, 0x380
	v_add_u32_e32 v8, s3, v8
	s_waitcnt vmcnt(0)
	v_mul_f16_sdwa v10, v1, v0 dst_sel:DWORD dst_unused:UNUSED_PAD src0_sel:DWORD src1_sel:WORD_1
	v_fma_f16 v10, v5, v0, v10
	v_mul_f16_sdwa v5, v5, v0 dst_sel:DWORD dst_unused:UNUSED_PAD src0_sel:DWORD src1_sel:WORD_1
	v_cvt_f32_f16_e32 v10, v10
	v_fma_f16 v0, v0, v1, -v5
	v_cvt_f32_f16_e32 v5, v0
	v_cvt_f64_f32_e32 v[0:1], v10
	v_cvt_f64_f32_e32 v[9:10], v5
	v_mul_f64 v[11:12], v[0:1], s[14:15]
	v_add_co_u32_e32 v0, vcc, s2, v14
	v_mul_f64 v[9:10], v[9:10], s[14:15]
	v_addc_co_u32_e32 v1, vcc, 0, v15, vcc
	v_and_or_b32 v5, v12, s16, v11
	v_cmp_ne_u32_e32 vcc, 0, v5
	v_lshrrev_b32_e32 v11, 8, v12
	v_and_or_b32 v9, v10, s16, v9
	v_bfe_u32 v13, v12, 20, 11
	v_cndmask_b32_e64 v5, 0, 1, vcc
	v_cmp_ne_u32_e32 vcc, 0, v9
	v_lshrrev_b32_e32 v14, 8, v10
	v_bfe_u32 v15, v10, 20, 11
	v_sub_u32_e32 v16, 0x3f1, v13
	v_cndmask_b32_e64 v9, 0, 1, vcc
	v_and_or_b32 v5, v11, s10, v5
	v_sub_u32_e32 v17, 0x3f1, v15
	v_med3_i32 v11, v16, 0, 13
	v_and_or_b32 v9, v14, s10, v9
	v_or_b32_e32 v16, 0x1000, v5
	v_add_u32_e32 v13, 0xfffffc10, v13
	v_med3_i32 v14, v17, 0, 13
	v_cmp_ne_u32_e32 vcc, 0, v5
	v_or_b32_e32 v18, 0x1000, v9
	v_lshrrev_b32_e32 v20, v11, v16
	v_add_u32_e32 v15, 0xfffffc10, v15
	v_lshl_or_b32 v17, v13, 12, v5
	v_cndmask_b32_e64 v5, 0, 1, vcc
	v_cmp_ne_u32_e32 vcc, 0, v9
	v_lshrrev_b32_e32 v21, v14, v18
	v_lshlrev_b32_e32 v11, v11, v20
	v_lshl_or_b32 v19, v15, 12, v9
	v_cndmask_b32_e64 v9, 0, 1, vcc
	v_lshlrev_b32_e32 v14, v14, v21
	v_cmp_ne_u32_e32 vcc, v11, v16
	v_cndmask_b32_e64 v11, 0, 1, vcc
	v_cmp_ne_u32_e32 vcc, v14, v18
	v_cndmask_b32_e64 v14, 0, 1, vcc
	v_or_b32_e32 v11, v20, v11
	v_cmp_gt_i32_e32 vcc, 1, v13
	v_cndmask_b32_e32 v11, v17, v11, vcc
	v_or_b32_e32 v14, v21, v14
	v_cmp_gt_i32_e32 vcc, 1, v15
	v_and_b32_e32 v16, 7, v11
	v_cndmask_b32_e32 v14, v19, v14, vcc
	v_cmp_lt_i32_e32 vcc, 5, v16
	v_cmp_eq_u32_e64 s[0:1], 3, v16
	v_lshrrev_b32_e32 v11, 2, v11
	v_and_b32_e32 v17, 7, v14
	s_or_b64 vcc, s[0:1], vcc
	v_cmp_lt_i32_e64 s[2:3], 5, v17
	v_cmp_eq_u32_e64 s[4:5], 3, v17
	v_addc_co_u32_e32 v11, vcc, 0, v11, vcc
	v_lshrrev_b32_e32 v14, 2, v14
	s_or_b64 vcc, s[4:5], s[2:3]
	v_addc_co_u32_e32 v14, vcc, 0, v14, vcc
	v_cmp_gt_i32_e32 vcc, 31, v13
	v_cndmask_b32_e32 v11, v2, v11, vcc
	v_cmp_gt_i32_e32 vcc, 31, v15
	v_lshl_or_b32 v5, v5, 9, v2
	v_cndmask_b32_e32 v14, v2, v14, vcc
	v_cmp_eq_u32_e32 vcc, s18, v13
	v_lshrrev_b32_e32 v12, 16, v12
	v_lshl_or_b32 v9, v9, 9, v2
	v_cndmask_b32_e32 v5, v11, v5, vcc
	v_cmp_eq_u32_e32 vcc, s18, v15
	v_lshrrev_b32_e32 v10, 16, v10
	v_cndmask_b32_e32 v9, v14, v9, vcc
	v_and_or_b32 v5, v12, s17, v5
	v_and_or_b32 v9, v10, s17, v9
	v_and_b32_e32 v5, 0xffff, v5
	v_lshl_or_b32 v5, v9, 16, v5
	global_store_dword v[7:8], v5, off
	global_load_dword v5, v[0:1], off offset:384
	v_lshrrev_b32_e32 v9, 16, v6
	v_mov_b32_e32 v11, s12
	v_add_co_u32_e32 v7, vcc, s11, v7
	v_addc_co_u32_e32 v8, vcc, v8, v11, vcc
	s_waitcnt vmcnt(0)
	v_mul_f16_sdwa v10, v9, v5 dst_sel:DWORD dst_unused:UNUSED_PAD src0_sel:DWORD src1_sel:WORD_1
	v_fma_f16 v10, v6, v5, v10
	v_mul_f16_sdwa v6, v6, v5 dst_sel:DWORD dst_unused:UNUSED_PAD src0_sel:DWORD src1_sel:WORD_1
	v_cvt_f32_f16_e32 v10, v10
	v_fma_f16 v5, v5, v9, -v6
	v_cvt_f32_f16_e32 v9, v5
	v_cvt_f64_f32_e32 v[5:6], v10
	v_cvt_f64_f32_e32 v[9:10], v9
	v_mul_f64 v[5:6], v[5:6], s[14:15]
	v_mul_f64 v[9:10], v[9:10], s[14:15]
	v_and_or_b32 v5, v6, s16, v5
	v_cmp_ne_u32_e32 vcc, 0, v5
	v_and_or_b32 v9, v10, s16, v9
	v_lshrrev_b32_e32 v11, 8, v6
	v_bfe_u32 v12, v6, 20, 11
	v_cndmask_b32_e64 v5, 0, 1, vcc
	v_cmp_ne_u32_e32 vcc, 0, v9
	v_lshrrev_b32_e32 v13, 8, v10
	v_bfe_u32 v14, v10, 20, 11
	v_sub_u32_e32 v15, 0x3f1, v12
	v_cndmask_b32_e64 v9, 0, 1, vcc
	v_and_or_b32 v5, v11, s10, v5
	v_sub_u32_e32 v16, 0x3f1, v14
	v_med3_i32 v11, v15, 0, 13
	v_and_or_b32 v9, v13, s10, v9
	v_or_b32_e32 v15, 0x1000, v5
	v_add_u32_e32 v12, 0xfffffc10, v12
	v_med3_i32 v13, v16, 0, 13
	v_cmp_ne_u32_e32 vcc, 0, v5
	v_or_b32_e32 v17, 0x1000, v9
	v_lshrrev_b32_e32 v19, v11, v15
	v_add_u32_e32 v14, 0xfffffc10, v14
	v_lshl_or_b32 v16, v12, 12, v5
	v_cndmask_b32_e64 v5, 0, 1, vcc
	v_cmp_ne_u32_e32 vcc, 0, v9
	v_lshrrev_b32_e32 v20, v13, v17
	v_lshlrev_b32_e32 v11, v11, v19
	v_lshl_or_b32 v18, v14, 12, v9
	v_cndmask_b32_e64 v9, 0, 1, vcc
	v_lshlrev_b32_e32 v13, v13, v20
	v_cmp_ne_u32_e32 vcc, v11, v15
	v_cndmask_b32_e64 v11, 0, 1, vcc
	v_cmp_ne_u32_e32 vcc, v13, v17
	v_cndmask_b32_e64 v13, 0, 1, vcc
	v_or_b32_e32 v11, v19, v11
	v_cmp_gt_i32_e32 vcc, 1, v12
	v_cndmask_b32_e32 v11, v16, v11, vcc
	v_or_b32_e32 v13, v20, v13
	v_cmp_gt_i32_e32 vcc, 1, v14
	v_and_b32_e32 v15, 7, v11
	v_cndmask_b32_e32 v13, v18, v13, vcc
	v_cmp_lt_i32_e32 vcc, 5, v15
	v_cmp_eq_u32_e64 s[0:1], 3, v15
	v_lshrrev_b32_e32 v11, 2, v11
	v_and_b32_e32 v16, 7, v13
	s_or_b64 vcc, s[0:1], vcc
	v_cmp_lt_i32_e64 s[2:3], 5, v16
	v_cmp_eq_u32_e64 s[4:5], 3, v16
	v_addc_co_u32_e32 v11, vcc, 0, v11, vcc
	v_lshrrev_b32_e32 v13, 2, v13
	s_or_b64 vcc, s[4:5], s[2:3]
	v_addc_co_u32_e32 v13, vcc, 0, v13, vcc
	v_cmp_gt_i32_e32 vcc, 31, v12
	v_cndmask_b32_e32 v11, v2, v11, vcc
	v_cmp_gt_i32_e32 vcc, 31, v14
	v_lshl_or_b32 v5, v5, 9, v2
	v_cndmask_b32_e32 v13, v2, v13, vcc
	v_cmp_eq_u32_e32 vcc, s18, v12
	v_lshrrev_b32_e32 v6, 16, v6
	v_lshl_or_b32 v9, v9, 9, v2
	v_cndmask_b32_e32 v5, v11, v5, vcc
	v_cmp_eq_u32_e32 vcc, s18, v14
	v_lshrrev_b32_e32 v10, 16, v10
	v_cndmask_b32_e32 v9, v13, v9, vcc
	v_and_or_b32 v5, v6, s17, v5
	v_and_or_b32 v6, v10, s17, v9
	v_and_b32_e32 v5, 0xffff, v5
	v_lshl_or_b32 v5, v6, 16, v5
	global_store_dword v[7:8], v5, off
	global_load_dword v9, v[0:1], off offset:832
	v_add_u32_e32 v5, 0x1200, v48
	ds_read2_b32 v[5:6], v5 offset0:80 offset1:192
	v_add_co_u32_e32 v7, vcc, s11, v7
	s_waitcnt lgkmcnt(0)
	v_lshrrev_b32_e32 v10, 16, v5
	s_waitcnt vmcnt(0)
	v_mul_f16_sdwa v11, v10, v9 dst_sel:DWORD dst_unused:UNUSED_PAD src0_sel:DWORD src1_sel:WORD_1
	v_fma_f16 v11, v5, v9, v11
	v_mul_f16_sdwa v5, v5, v9 dst_sel:DWORD dst_unused:UNUSED_PAD src0_sel:DWORD src1_sel:WORD_1
	v_cvt_f32_f16_e32 v11, v11
	v_fma_f16 v5, v9, v10, -v5
	v_cvt_f32_f16_e32 v5, v5
	v_cvt_f64_f32_e32 v[9:10], v11
	v_cvt_f64_f32_e32 v[11:12], v5
	v_mov_b32_e32 v5, s12
	v_mul_f64 v[9:10], v[9:10], s[14:15]
	v_addc_co_u32_e32 v8, vcc, v8, v5, vcc
	v_mul_f64 v[11:12], v[11:12], s[14:15]
	v_and_or_b32 v5, v10, s16, v9
	v_cmp_ne_u32_e32 vcc, 0, v5
	v_lshrrev_b32_e32 v9, 8, v10
	v_and_or_b32 v11, v12, s16, v11
	v_bfe_u32 v13, v10, 20, 11
	v_cndmask_b32_e64 v5, 0, 1, vcc
	v_cmp_ne_u32_e32 vcc, 0, v11
	v_lshrrev_b32_e32 v14, 8, v12
	v_bfe_u32 v15, v12, 20, 11
	v_sub_u32_e32 v16, 0x3f1, v13
	v_cndmask_b32_e64 v11, 0, 1, vcc
	v_and_or_b32 v5, v9, s10, v5
	v_sub_u32_e32 v17, 0x3f1, v15
	v_med3_i32 v9, v16, 0, 13
	v_and_or_b32 v11, v14, s10, v11
	v_or_b32_e32 v16, 0x1000, v5
	v_add_u32_e32 v13, 0xfffffc10, v13
	v_med3_i32 v14, v17, 0, 13
	v_cmp_ne_u32_e32 vcc, 0, v5
	v_or_b32_e32 v18, 0x1000, v11
	v_lshrrev_b32_e32 v20, v9, v16
	v_add_u32_e32 v15, 0xfffffc10, v15
	v_lshl_or_b32 v17, v13, 12, v5
	v_cndmask_b32_e64 v5, 0, 1, vcc
	v_cmp_ne_u32_e32 vcc, 0, v11
	v_lshrrev_b32_e32 v21, v14, v18
	v_lshlrev_b32_e32 v9, v9, v20
	v_lshl_or_b32 v19, v15, 12, v11
	v_cndmask_b32_e64 v11, 0, 1, vcc
	v_lshlrev_b32_e32 v14, v14, v21
	v_cmp_ne_u32_e32 vcc, v9, v16
	v_cndmask_b32_e64 v9, 0, 1, vcc
	v_cmp_ne_u32_e32 vcc, v14, v18
	v_cndmask_b32_e64 v14, 0, 1, vcc
	v_or_b32_e32 v9, v20, v9
	v_cmp_gt_i32_e32 vcc, 1, v13
	v_cndmask_b32_e32 v9, v17, v9, vcc
	v_or_b32_e32 v14, v21, v14
	v_cmp_gt_i32_e32 vcc, 1, v15
	v_and_b32_e32 v16, 7, v9
	v_cndmask_b32_e32 v14, v19, v14, vcc
	v_cmp_lt_i32_e32 vcc, 5, v16
	v_cmp_eq_u32_e64 s[0:1], 3, v16
	v_lshrrev_b32_e32 v9, 2, v9
	v_and_b32_e32 v17, 7, v14
	s_or_b64 vcc, s[0:1], vcc
	v_cmp_lt_i32_e64 s[2:3], 5, v17
	v_cmp_eq_u32_e64 s[4:5], 3, v17
	v_addc_co_u32_e32 v9, vcc, 0, v9, vcc
	v_lshrrev_b32_e32 v14, 2, v14
	s_or_b64 vcc, s[4:5], s[2:3]
	v_addc_co_u32_e32 v14, vcc, 0, v14, vcc
	v_cmp_gt_i32_e32 vcc, 31, v13
	v_cndmask_b32_e32 v9, v2, v9, vcc
	v_cmp_gt_i32_e32 vcc, 31, v15
	v_lshl_or_b32 v5, v5, 9, v2
	v_cndmask_b32_e32 v14, v2, v14, vcc
	v_cmp_eq_u32_e32 vcc, s18, v13
	v_lshrrev_b32_e32 v10, 16, v10
	v_lshl_or_b32 v11, v11, 9, v2
	v_cndmask_b32_e32 v5, v9, v5, vcc
	v_cmp_eq_u32_e32 vcc, s18, v15
	v_lshrrev_b32_e32 v12, 16, v12
	v_cndmask_b32_e32 v9, v14, v11, vcc
	v_and_or_b32 v5, v10, s17, v5
	v_and_or_b32 v9, v12, s17, v9
	v_and_b32_e32 v5, 0xffff, v5
	v_lshl_or_b32 v5, v9, 16, v5
	global_store_dword v[7:8], v5, off
	global_load_dword v5, v[0:1], off offset:1280
	v_lshrrev_b32_e32 v9, 16, v6
	v_mov_b32_e32 v11, s12
	v_add_co_u32_e32 v7, vcc, s11, v7
	v_addc_co_u32_e32 v8, vcc, v8, v11, vcc
	s_waitcnt vmcnt(0)
	v_mul_f16_sdwa v10, v9, v5 dst_sel:DWORD dst_unused:UNUSED_PAD src0_sel:DWORD src1_sel:WORD_1
	v_fma_f16 v10, v6, v5, v10
	v_mul_f16_sdwa v6, v6, v5 dst_sel:DWORD dst_unused:UNUSED_PAD src0_sel:DWORD src1_sel:WORD_1
	v_cvt_f32_f16_e32 v10, v10
	v_fma_f16 v5, v5, v9, -v6
	v_cvt_f32_f16_e32 v9, v5
	v_cvt_f64_f32_e32 v[5:6], v10
	v_cvt_f64_f32_e32 v[9:10], v9
	v_mul_f64 v[5:6], v[5:6], s[14:15]
	v_mul_f64 v[9:10], v[9:10], s[14:15]
	v_and_or_b32 v5, v6, s16, v5
	v_cmp_ne_u32_e32 vcc, 0, v5
	v_and_or_b32 v9, v10, s16, v9
	v_lshrrev_b32_e32 v11, 8, v6
	v_bfe_u32 v12, v6, 20, 11
	v_cndmask_b32_e64 v5, 0, 1, vcc
	v_cmp_ne_u32_e32 vcc, 0, v9
	v_lshrrev_b32_e32 v13, 8, v10
	v_bfe_u32 v14, v10, 20, 11
	v_sub_u32_e32 v15, 0x3f1, v12
	v_cndmask_b32_e64 v9, 0, 1, vcc
	v_and_or_b32 v5, v11, s10, v5
	v_sub_u32_e32 v16, 0x3f1, v14
	v_med3_i32 v11, v15, 0, 13
	v_and_or_b32 v9, v13, s10, v9
	v_or_b32_e32 v15, 0x1000, v5
	v_add_u32_e32 v12, 0xfffffc10, v12
	v_med3_i32 v13, v16, 0, 13
	v_cmp_ne_u32_e32 vcc, 0, v5
	v_or_b32_e32 v17, 0x1000, v9
	v_lshrrev_b32_e32 v19, v11, v15
	v_add_u32_e32 v14, 0xfffffc10, v14
	v_lshl_or_b32 v16, v12, 12, v5
	v_cndmask_b32_e64 v5, 0, 1, vcc
	v_cmp_ne_u32_e32 vcc, 0, v9
	v_lshrrev_b32_e32 v20, v13, v17
	v_lshlrev_b32_e32 v11, v11, v19
	v_lshl_or_b32 v18, v14, 12, v9
	v_cndmask_b32_e64 v9, 0, 1, vcc
	v_lshlrev_b32_e32 v13, v13, v20
	v_cmp_ne_u32_e32 vcc, v11, v15
	v_cndmask_b32_e64 v11, 0, 1, vcc
	v_cmp_ne_u32_e32 vcc, v13, v17
	v_cndmask_b32_e64 v13, 0, 1, vcc
	v_or_b32_e32 v11, v19, v11
	v_cmp_gt_i32_e32 vcc, 1, v12
	v_cndmask_b32_e32 v11, v16, v11, vcc
	v_or_b32_e32 v13, v20, v13
	v_cmp_gt_i32_e32 vcc, 1, v14
	v_and_b32_e32 v15, 7, v11
	v_cndmask_b32_e32 v13, v18, v13, vcc
	v_cmp_lt_i32_e32 vcc, 5, v15
	v_cmp_eq_u32_e64 s[0:1], 3, v15
	v_lshrrev_b32_e32 v11, 2, v11
	v_and_b32_e32 v16, 7, v13
	s_or_b64 vcc, s[0:1], vcc
	v_cmp_lt_i32_e64 s[2:3], 5, v16
	v_cmp_eq_u32_e64 s[4:5], 3, v16
	v_addc_co_u32_e32 v11, vcc, 0, v11, vcc
	v_lshrrev_b32_e32 v13, 2, v13
	s_or_b64 vcc, s[4:5], s[2:3]
	v_addc_co_u32_e32 v13, vcc, 0, v13, vcc
	v_cmp_gt_i32_e32 vcc, 31, v12
	v_cndmask_b32_e32 v11, v2, v11, vcc
	v_cmp_gt_i32_e32 vcc, 31, v14
	v_lshl_or_b32 v5, v5, 9, v2
	v_cndmask_b32_e32 v13, v2, v13, vcc
	v_cmp_eq_u32_e32 vcc, s18, v12
	v_lshrrev_b32_e32 v6, 16, v6
	v_lshl_or_b32 v9, v9, 9, v2
	v_cndmask_b32_e32 v5, v11, v5, vcc
	v_cmp_eq_u32_e32 vcc, s18, v14
	v_lshrrev_b32_e32 v10, 16, v10
	v_cndmask_b32_e32 v9, v13, v9, vcc
	v_and_or_b32 v5, v6, s17, v5
	v_and_or_b32 v6, v10, s17, v9
	v_and_b32_e32 v5, 0xffff, v5
	v_lshl_or_b32 v5, v6, 16, v5
	global_store_dword v[7:8], v5, off
	global_load_dword v9, v[0:1], off offset:1728
	v_add_u32_e32 v5, 0x1600, v48
	ds_read2_b32 v[5:6], v5 offset0:48 offset1:160
	v_add_co_u32_e32 v7, vcc, s11, v7
	s_waitcnt lgkmcnt(0)
	v_lshrrev_b32_e32 v10, 16, v5
	s_waitcnt vmcnt(0)
	v_mul_f16_sdwa v11, v10, v9 dst_sel:DWORD dst_unused:UNUSED_PAD src0_sel:DWORD src1_sel:WORD_1
	v_fma_f16 v11, v5, v9, v11
	v_mul_f16_sdwa v5, v5, v9 dst_sel:DWORD dst_unused:UNUSED_PAD src0_sel:DWORD src1_sel:WORD_1
	v_cvt_f32_f16_e32 v11, v11
	v_fma_f16 v5, v9, v10, -v5
	v_cvt_f32_f16_e32 v5, v5
	v_cvt_f64_f32_e32 v[9:10], v11
	v_cvt_f64_f32_e32 v[11:12], v5
	v_mov_b32_e32 v5, s12
	v_mul_f64 v[9:10], v[9:10], s[14:15]
	v_addc_co_u32_e32 v8, vcc, v8, v5, vcc
	v_mul_f64 v[11:12], v[11:12], s[14:15]
	v_and_or_b32 v5, v10, s16, v9
	v_cmp_ne_u32_e32 vcc, 0, v5
	v_lshrrev_b32_e32 v9, 8, v10
	v_and_or_b32 v11, v12, s16, v11
	v_bfe_u32 v13, v10, 20, 11
	v_cndmask_b32_e64 v5, 0, 1, vcc
	v_cmp_ne_u32_e32 vcc, 0, v11
	v_lshrrev_b32_e32 v14, 8, v12
	v_bfe_u32 v15, v12, 20, 11
	v_sub_u32_e32 v16, 0x3f1, v13
	v_cndmask_b32_e64 v11, 0, 1, vcc
	v_and_or_b32 v5, v9, s10, v5
	v_sub_u32_e32 v17, 0x3f1, v15
	v_med3_i32 v9, v16, 0, 13
	v_and_or_b32 v11, v14, s10, v11
	v_or_b32_e32 v16, 0x1000, v5
	v_add_u32_e32 v13, 0xfffffc10, v13
	v_med3_i32 v14, v17, 0, 13
	v_cmp_ne_u32_e32 vcc, 0, v5
	v_or_b32_e32 v18, 0x1000, v11
	v_lshrrev_b32_e32 v20, v9, v16
	v_add_u32_e32 v15, 0xfffffc10, v15
	v_lshl_or_b32 v17, v13, 12, v5
	v_cndmask_b32_e64 v5, 0, 1, vcc
	v_cmp_ne_u32_e32 vcc, 0, v11
	v_lshrrev_b32_e32 v21, v14, v18
	v_lshlrev_b32_e32 v9, v9, v20
	v_lshl_or_b32 v19, v15, 12, v11
	v_cndmask_b32_e64 v11, 0, 1, vcc
	v_lshlrev_b32_e32 v14, v14, v21
	v_cmp_ne_u32_e32 vcc, v9, v16
	v_cndmask_b32_e64 v9, 0, 1, vcc
	v_cmp_ne_u32_e32 vcc, v14, v18
	v_cndmask_b32_e64 v14, 0, 1, vcc
	v_or_b32_e32 v9, v20, v9
	v_cmp_gt_i32_e32 vcc, 1, v13
	v_cndmask_b32_e32 v9, v17, v9, vcc
	v_or_b32_e32 v14, v21, v14
	v_cmp_gt_i32_e32 vcc, 1, v15
	v_and_b32_e32 v16, 7, v9
	v_cndmask_b32_e32 v14, v19, v14, vcc
	v_cmp_lt_i32_e32 vcc, 5, v16
	v_cmp_eq_u32_e64 s[0:1], 3, v16
	v_lshrrev_b32_e32 v9, 2, v9
	v_and_b32_e32 v17, 7, v14
	s_or_b64 vcc, s[0:1], vcc
	v_cmp_lt_i32_e64 s[2:3], 5, v17
	v_cmp_eq_u32_e64 s[4:5], 3, v17
	v_addc_co_u32_e32 v9, vcc, 0, v9, vcc
	v_lshrrev_b32_e32 v14, 2, v14
	s_or_b64 vcc, s[4:5], s[2:3]
	v_addc_co_u32_e32 v14, vcc, 0, v14, vcc
	v_cmp_gt_i32_e32 vcc, 31, v13
	v_cndmask_b32_e32 v9, v2, v9, vcc
	v_cmp_gt_i32_e32 vcc, 31, v15
	v_lshl_or_b32 v5, v5, 9, v2
	v_cndmask_b32_e32 v14, v2, v14, vcc
	v_cmp_eq_u32_e32 vcc, s18, v13
	v_lshrrev_b32_e32 v10, 16, v10
	v_lshl_or_b32 v11, v11, 9, v2
	v_cndmask_b32_e32 v5, v9, v5, vcc
	v_cmp_eq_u32_e32 vcc, s18, v15
	v_lshrrev_b32_e32 v12, 16, v12
	v_cndmask_b32_e32 v9, v14, v11, vcc
	v_and_or_b32 v5, v10, s17, v5
	v_and_or_b32 v9, v12, s17, v9
	v_and_b32_e32 v5, 0xffff, v5
	v_lshl_or_b32 v5, v9, 16, v5
	global_store_dword v[7:8], v5, off
	global_load_dword v5, v[0:1], off offset:2176
	v_lshrrev_b32_e32 v9, 16, v6
	v_mov_b32_e32 v11, s12
	v_add_co_u32_e32 v7, vcc, s11, v7
	v_addc_co_u32_e32 v8, vcc, v8, v11, vcc
	s_waitcnt vmcnt(0)
	v_mul_f16_sdwa v10, v9, v5 dst_sel:DWORD dst_unused:UNUSED_PAD src0_sel:DWORD src1_sel:WORD_1
	v_fma_f16 v10, v6, v5, v10
	v_mul_f16_sdwa v6, v6, v5 dst_sel:DWORD dst_unused:UNUSED_PAD src0_sel:DWORD src1_sel:WORD_1
	v_cvt_f32_f16_e32 v10, v10
	v_fma_f16 v5, v5, v9, -v6
	v_cvt_f32_f16_e32 v9, v5
	v_cvt_f64_f32_e32 v[5:6], v10
	v_cvt_f64_f32_e32 v[9:10], v9
	v_mul_f64 v[5:6], v[5:6], s[14:15]
	v_mul_f64 v[9:10], v[9:10], s[14:15]
	v_and_or_b32 v5, v6, s16, v5
	v_cmp_ne_u32_e32 vcc, 0, v5
	v_and_or_b32 v9, v10, s16, v9
	v_lshrrev_b32_e32 v11, 8, v6
	v_bfe_u32 v12, v6, 20, 11
	v_cndmask_b32_e64 v5, 0, 1, vcc
	v_cmp_ne_u32_e32 vcc, 0, v9
	v_lshrrev_b32_e32 v13, 8, v10
	v_bfe_u32 v14, v10, 20, 11
	v_sub_u32_e32 v15, 0x3f1, v12
	v_cndmask_b32_e64 v9, 0, 1, vcc
	v_and_or_b32 v5, v11, s10, v5
	v_sub_u32_e32 v16, 0x3f1, v14
	v_med3_i32 v11, v15, 0, 13
	v_and_or_b32 v9, v13, s10, v9
	v_or_b32_e32 v15, 0x1000, v5
	v_add_u32_e32 v12, 0xfffffc10, v12
	v_med3_i32 v13, v16, 0, 13
	v_cmp_ne_u32_e32 vcc, 0, v5
	v_or_b32_e32 v17, 0x1000, v9
	v_lshrrev_b32_e32 v19, v11, v15
	v_add_u32_e32 v14, 0xfffffc10, v14
	v_lshl_or_b32 v16, v12, 12, v5
	v_cndmask_b32_e64 v5, 0, 1, vcc
	v_cmp_ne_u32_e32 vcc, 0, v9
	v_lshrrev_b32_e32 v20, v13, v17
	v_lshlrev_b32_e32 v11, v11, v19
	v_lshl_or_b32 v18, v14, 12, v9
	v_cndmask_b32_e64 v9, 0, 1, vcc
	v_lshlrev_b32_e32 v13, v13, v20
	v_cmp_ne_u32_e32 vcc, v11, v15
	v_cndmask_b32_e64 v11, 0, 1, vcc
	v_cmp_ne_u32_e32 vcc, v13, v17
	v_cndmask_b32_e64 v13, 0, 1, vcc
	v_or_b32_e32 v11, v19, v11
	v_cmp_gt_i32_e32 vcc, 1, v12
	v_cndmask_b32_e32 v11, v16, v11, vcc
	v_or_b32_e32 v13, v20, v13
	v_cmp_gt_i32_e32 vcc, 1, v14
	v_and_b32_e32 v15, 7, v11
	v_cndmask_b32_e32 v13, v18, v13, vcc
	v_cmp_lt_i32_e32 vcc, 5, v15
	v_cmp_eq_u32_e64 s[0:1], 3, v15
	v_lshrrev_b32_e32 v11, 2, v11
	v_and_b32_e32 v16, 7, v13
	s_or_b64 vcc, s[0:1], vcc
	v_cmp_lt_i32_e64 s[2:3], 5, v16
	v_cmp_eq_u32_e64 s[4:5], 3, v16
	v_addc_co_u32_e32 v11, vcc, 0, v11, vcc
	v_lshrrev_b32_e32 v13, 2, v13
	s_or_b64 vcc, s[4:5], s[2:3]
	v_addc_co_u32_e32 v13, vcc, 0, v13, vcc
	v_cmp_gt_i32_e32 vcc, 31, v12
	v_cndmask_b32_e32 v11, v2, v11, vcc
	v_cmp_gt_i32_e32 vcc, 31, v14
	v_lshl_or_b32 v5, v5, 9, v2
	v_cndmask_b32_e32 v13, v2, v13, vcc
	v_cmp_eq_u32_e32 vcc, s18, v12
	v_lshrrev_b32_e32 v6, 16, v6
	v_lshl_or_b32 v9, v9, 9, v2
	v_cndmask_b32_e32 v5, v11, v5, vcc
	v_cmp_eq_u32_e32 vcc, s18, v14
	v_lshrrev_b32_e32 v10, 16, v10
	v_cndmask_b32_e32 v9, v13, v9, vcc
	v_and_or_b32 v5, v6, s17, v5
	v_and_or_b32 v6, v10, s17, v9
	v_and_b32_e32 v5, 0xffff, v5
	v_lshl_or_b32 v5, v6, 16, v5
	global_store_dword v[7:8], v5, off
	global_load_dword v5, v[0:1], off offset:2624
	v_add_u32_e32 v0, 0x1a00, v48
	ds_read2_b32 v[0:1], v0 offset0:16 offset1:128
	v_mov_b32_e32 v12, s12
	v_add_co_u32_e32 v7, vcc, s11, v7
	v_addc_co_u32_e32 v8, vcc, v8, v12, vcc
	s_waitcnt lgkmcnt(0)
	v_lshrrev_b32_e32 v6, 16, v0
	v_or_b32_e32 v11, 0x700, v47
	s_waitcnt vmcnt(0)
	v_mul_f16_sdwa v9, v6, v5 dst_sel:DWORD dst_unused:UNUSED_PAD src0_sel:DWORD src1_sel:WORD_1
	v_fma_f16 v9, v0, v5, v9
	v_mul_f16_sdwa v0, v0, v5 dst_sel:DWORD dst_unused:UNUSED_PAD src0_sel:DWORD src1_sel:WORD_1
	v_cvt_f32_f16_e32 v9, v9
	v_fma_f16 v0, v5, v6, -v0
	v_cvt_f32_f16_e32 v0, v0
	v_cvt_f64_f32_e32 v[5:6], v9
	v_cvt_f64_f32_e32 v[9:10], v0
	v_lshlrev_b32_e32 v0, 2, v11
	v_mul_f64 v[5:6], v[5:6], s[14:15]
	v_mul_f64 v[9:10], v[9:10], s[14:15]
	v_and_or_b32 v5, v6, s16, v5
	v_cmp_ne_u32_e32 vcc, 0, v5
	v_and_or_b32 v9, v10, s16, v9
	v_lshrrev_b32_e32 v12, 8, v6
	v_bfe_u32 v13, v6, 20, 11
	v_cndmask_b32_e64 v5, 0, 1, vcc
	v_cmp_ne_u32_e32 vcc, 0, v9
	v_lshrrev_b32_e32 v14, 8, v10
	v_bfe_u32 v15, v10, 20, 11
	v_sub_u32_e32 v16, 0x3f1, v13
	v_cndmask_b32_e64 v9, 0, 1, vcc
	v_and_or_b32 v5, v12, s10, v5
	v_sub_u32_e32 v17, 0x3f1, v15
	v_med3_i32 v12, v16, 0, 13
	v_and_or_b32 v9, v14, s10, v9
	v_or_b32_e32 v16, 0x1000, v5
	v_add_u32_e32 v13, 0xfffffc10, v13
	v_med3_i32 v14, v17, 0, 13
	v_cmp_ne_u32_e32 vcc, 0, v5
	v_or_b32_e32 v18, 0x1000, v9
	v_lshrrev_b32_e32 v20, v12, v16
	v_add_u32_e32 v15, 0xfffffc10, v15
	v_lshl_or_b32 v17, v13, 12, v5
	v_cndmask_b32_e64 v5, 0, 1, vcc
	v_cmp_ne_u32_e32 vcc, 0, v9
	v_lshrrev_b32_e32 v21, v14, v18
	v_lshlrev_b32_e32 v12, v12, v20
	v_lshl_or_b32 v19, v15, 12, v9
	v_cndmask_b32_e64 v9, 0, 1, vcc
	v_lshlrev_b32_e32 v14, v14, v21
	v_cmp_ne_u32_e32 vcc, v12, v16
	v_cndmask_b32_e64 v12, 0, 1, vcc
	v_cmp_ne_u32_e32 vcc, v14, v18
	v_cndmask_b32_e64 v14, 0, 1, vcc
	v_or_b32_e32 v12, v20, v12
	v_cmp_gt_i32_e32 vcc, 1, v13
	v_cndmask_b32_e32 v12, v17, v12, vcc
	v_or_b32_e32 v14, v21, v14
	v_cmp_gt_i32_e32 vcc, 1, v15
	v_and_b32_e32 v16, 7, v12
	v_cndmask_b32_e32 v14, v19, v14, vcc
	v_cmp_lt_i32_e32 vcc, 5, v16
	v_cmp_eq_u32_e64 s[0:1], 3, v16
	v_lshrrev_b32_e32 v12, 2, v12
	v_and_b32_e32 v17, 7, v14
	s_or_b64 vcc, s[0:1], vcc
	v_cmp_lt_i32_e64 s[2:3], 5, v17
	v_cmp_eq_u32_e64 s[4:5], 3, v17
	v_addc_co_u32_e32 v12, vcc, 0, v12, vcc
	v_lshrrev_b32_e32 v14, 2, v14
	s_or_b64 vcc, s[4:5], s[2:3]
	v_addc_co_u32_e32 v14, vcc, 0, v14, vcc
	v_cmp_gt_i32_e32 vcc, 31, v13
	v_cndmask_b32_e32 v12, v2, v12, vcc
	v_cmp_gt_i32_e32 vcc, 31, v15
	v_lshl_or_b32 v5, v5, 9, v2
	v_cndmask_b32_e32 v14, v2, v14, vcc
	v_cmp_eq_u32_e32 vcc, s18, v13
	v_lshrrev_b32_e32 v6, 16, v6
	v_lshl_or_b32 v9, v9, 9, v2
	v_cndmask_b32_e32 v5, v12, v5, vcc
	v_cmp_eq_u32_e32 vcc, s18, v15
	v_lshrrev_b32_e32 v10, 16, v10
	v_cndmask_b32_e32 v9, v14, v9, vcc
	v_and_or_b32 v5, v6, s17, v5
	v_and_or_b32 v6, v10, s17, v9
	v_and_b32_e32 v5, 0xffff, v5
	v_lshl_or_b32 v5, v6, 16, v5
	global_store_dword v[7:8], v5, off
	global_load_dword v0, v0, s[6:7]
	v_lshrrev_b32_e32 v7, 16, v1
	v_mad_u64_u32 v[5:6], s[0:1], s8, v11, 0
	s_waitcnt vmcnt(0)
	v_mul_f16_sdwa v8, v7, v0 dst_sel:DWORD dst_unused:UNUSED_PAD src0_sel:DWORD src1_sel:WORD_1
	v_fma_f16 v8, v1, v0, v8
	v_mul_f16_sdwa v1, v1, v0 dst_sel:DWORD dst_unused:UNUSED_PAD src0_sel:DWORD src1_sel:WORD_1
	v_cvt_f32_f16_e32 v8, v8
	v_fma_f16 v0, v0, v7, -v1
	v_cvt_f32_f16_e32 v7, v0
	v_cvt_f64_f32_e32 v[0:1], v8
	v_cvt_f64_f32_e32 v[7:8], v7
	v_mul_f64 v[0:1], v[0:1], s[14:15]
	v_mad_u64_u32 v[9:10], s[0:1], s9, v11, v[6:7]
	v_mul_f64 v[7:8], v[7:8], s[14:15]
	v_mov_b32_e32 v6, v9
	v_lshlrev_b64 v[5:6], 2, v[5:6]
	v_and_or_b32 v0, v1, s16, v0
	v_cmp_ne_u32_e32 vcc, 0, v0
	v_lshrrev_b32_e32 v9, 8, v1
	v_bfe_u32 v10, v1, 20, 11
	v_and_or_b32 v7, v8, s16, v7
	v_cndmask_b32_e64 v0, 0, 1, vcc
	v_cmp_ne_u32_e32 vcc, 0, v7
	v_lshrrev_b32_e32 v11, 8, v8
	v_bfe_u32 v12, v8, 20, 11
	v_sub_u32_e32 v13, 0x3f1, v10
	v_cndmask_b32_e64 v7, 0, 1, vcc
	v_and_or_b32 v0, v9, s10, v0
	v_sub_u32_e32 v14, 0x3f1, v12
	v_med3_i32 v9, v13, 0, 13
	v_and_or_b32 v7, v11, s10, v7
	v_or_b32_e32 v13, 0x1000, v0
	v_add_u32_e32 v10, 0xfffffc10, v10
	v_med3_i32 v11, v14, 0, 13
	v_cmp_ne_u32_e32 vcc, 0, v0
	v_or_b32_e32 v15, 0x1000, v7
	v_lshrrev_b32_e32 v17, v9, v13
	v_add_u32_e32 v12, 0xfffffc10, v12
	v_lshl_or_b32 v14, v10, 12, v0
	v_cndmask_b32_e64 v0, 0, 1, vcc
	v_cmp_ne_u32_e32 vcc, 0, v7
	v_lshrrev_b32_e32 v18, v11, v15
	v_lshlrev_b32_e32 v9, v9, v17
	v_lshl_or_b32 v16, v12, 12, v7
	v_cndmask_b32_e64 v7, 0, 1, vcc
	v_lshlrev_b32_e32 v11, v11, v18
	v_cmp_ne_u32_e32 vcc, v9, v13
	v_cndmask_b32_e64 v9, 0, 1, vcc
	v_cmp_ne_u32_e32 vcc, v11, v15
	v_cndmask_b32_e64 v11, 0, 1, vcc
	v_or_b32_e32 v9, v17, v9
	v_cmp_gt_i32_e32 vcc, 1, v10
	v_cndmask_b32_e32 v9, v14, v9, vcc
	v_or_b32_e32 v11, v18, v11
	v_cmp_gt_i32_e32 vcc, 1, v12
	v_and_b32_e32 v13, 7, v9
	v_cndmask_b32_e32 v11, v16, v11, vcc
	v_cmp_lt_i32_e32 vcc, 5, v13
	v_cmp_eq_u32_e64 s[0:1], 3, v13
	v_lshrrev_b32_e32 v9, 2, v9
	v_and_b32_e32 v14, 7, v11
	s_or_b64 vcc, s[0:1], vcc
	v_cmp_lt_i32_e64 s[2:3], 5, v14
	v_cmp_eq_u32_e64 s[4:5], 3, v14
	v_addc_co_u32_e32 v9, vcc, 0, v9, vcc
	v_lshrrev_b32_e32 v11, 2, v11
	s_or_b64 vcc, s[4:5], s[2:3]
	v_addc_co_u32_e32 v11, vcc, 0, v11, vcc
	v_cmp_gt_i32_e32 vcc, 31, v10
	v_cndmask_b32_e32 v9, v2, v9, vcc
	v_cmp_gt_i32_e32 vcc, 31, v12
	v_lshl_or_b32 v0, v0, 9, v2
	v_lshl_or_b32 v7, v7, 9, v2
	v_cndmask_b32_e32 v2, v2, v11, vcc
	v_cmp_eq_u32_e32 vcc, s18, v10
	v_lshrrev_b32_e32 v1, 16, v1
	v_cndmask_b32_e32 v0, v9, v0, vcc
	v_cmp_eq_u32_e32 vcc, s18, v12
	v_lshrrev_b32_e32 v8, 16, v8
	v_cndmask_b32_e32 v2, v2, v7, vcc
	v_and_or_b32 v0, v1, s17, v0
	v_and_or_b32 v1, v8, s17, v2
	v_and_b32_e32 v0, 0xffff, v0
	v_lshl_or_b32 v2, v1, 16, v0
	v_add_co_u32_e32 v0, vcc, v3, v5
	v_addc_co_u32_e32 v1, vcc, v4, v6, vcc
	global_store_dword v[0:1], v2, off
.LBB0_23:
	s_endpgm
	.section	.rodata,"a",@progbits
	.p2align	6, 0x0
	.amdhsa_kernel bluestein_single_fwd_len1904_dim1_half_op_CI_CI
		.amdhsa_group_segment_fixed_size 7616
		.amdhsa_private_segment_fixed_size 132
		.amdhsa_kernarg_size 104
		.amdhsa_user_sgpr_count 6
		.amdhsa_user_sgpr_private_segment_buffer 1
		.amdhsa_user_sgpr_dispatch_ptr 0
		.amdhsa_user_sgpr_queue_ptr 0
		.amdhsa_user_sgpr_kernarg_segment_ptr 1
		.amdhsa_user_sgpr_dispatch_id 0
		.amdhsa_user_sgpr_flat_scratch_init 0
		.amdhsa_user_sgpr_private_segment_size 0
		.amdhsa_uses_dynamic_stack 0
		.amdhsa_system_sgpr_private_segment_wavefront_offset 1
		.amdhsa_system_sgpr_workgroup_id_x 1
		.amdhsa_system_sgpr_workgroup_id_y 0
		.amdhsa_system_sgpr_workgroup_id_z 0
		.amdhsa_system_sgpr_workgroup_info 0
		.amdhsa_system_vgpr_workitem_id 0
		.amdhsa_next_free_vgpr 256
		.amdhsa_next_free_sgpr 40
		.amdhsa_reserve_vcc 1
		.amdhsa_reserve_flat_scratch 0
		.amdhsa_float_round_mode_32 0
		.amdhsa_float_round_mode_16_64 0
		.amdhsa_float_denorm_mode_32 3
		.amdhsa_float_denorm_mode_16_64 3
		.amdhsa_dx10_clamp 1
		.amdhsa_ieee_mode 1
		.amdhsa_fp16_overflow 0
		.amdhsa_exception_fp_ieee_invalid_op 0
		.amdhsa_exception_fp_denorm_src 0
		.amdhsa_exception_fp_ieee_div_zero 0
		.amdhsa_exception_fp_ieee_overflow 0
		.amdhsa_exception_fp_ieee_underflow 0
		.amdhsa_exception_fp_ieee_inexact 0
		.amdhsa_exception_int_div_zero 0
	.end_amdhsa_kernel
	.text
.Lfunc_end0:
	.size	bluestein_single_fwd_len1904_dim1_half_op_CI_CI, .Lfunc_end0-bluestein_single_fwd_len1904_dim1_half_op_CI_CI
                                        ; -- End function
	.section	.AMDGPU.csdata,"",@progbits
; Kernel info:
; codeLenInByte = 34688
; NumSgprs: 44
; NumVgprs: 256
; ScratchSize: 132
; MemoryBound: 0
; FloatMode: 240
; IeeeMode: 1
; LDSByteSize: 7616 bytes/workgroup (compile time only)
; SGPRBlocks: 5
; VGPRBlocks: 63
; NumSGPRsForWavesPerEU: 44
; NumVGPRsForWavesPerEU: 256
; Occupancy: 1
; WaveLimiterHint : 1
; COMPUTE_PGM_RSRC2:SCRATCH_EN: 1
; COMPUTE_PGM_RSRC2:USER_SGPR: 6
; COMPUTE_PGM_RSRC2:TRAP_HANDLER: 0
; COMPUTE_PGM_RSRC2:TGID_X_EN: 1
; COMPUTE_PGM_RSRC2:TGID_Y_EN: 0
; COMPUTE_PGM_RSRC2:TGID_Z_EN: 0
; COMPUTE_PGM_RSRC2:TIDIG_COMP_CNT: 0
	.type	__hip_cuid_8505308cfe47a5e7,@object ; @__hip_cuid_8505308cfe47a5e7
	.section	.bss,"aw",@nobits
	.globl	__hip_cuid_8505308cfe47a5e7
__hip_cuid_8505308cfe47a5e7:
	.byte	0                               ; 0x0
	.size	__hip_cuid_8505308cfe47a5e7, 1

	.ident	"AMD clang version 19.0.0git (https://github.com/RadeonOpenCompute/llvm-project roc-6.4.0 25133 c7fe45cf4b819c5991fe208aaa96edf142730f1d)"
	.section	".note.GNU-stack","",@progbits
	.addrsig
	.addrsig_sym __hip_cuid_8505308cfe47a5e7
	.amdgpu_metadata
---
amdhsa.kernels:
  - .args:
      - .actual_access:  read_only
        .address_space:  global
        .offset:         0
        .size:           8
        .value_kind:     global_buffer
      - .actual_access:  read_only
        .address_space:  global
        .offset:         8
        .size:           8
        .value_kind:     global_buffer
      - .actual_access:  read_only
        .address_space:  global
        .offset:         16
        .size:           8
        .value_kind:     global_buffer
      - .actual_access:  read_only
        .address_space:  global
        .offset:         24
        .size:           8
        .value_kind:     global_buffer
      - .actual_access:  read_only
        .address_space:  global
        .offset:         32
        .size:           8
        .value_kind:     global_buffer
      - .offset:         40
        .size:           8
        .value_kind:     by_value
      - .address_space:  global
        .offset:         48
        .size:           8
        .value_kind:     global_buffer
      - .address_space:  global
        .offset:         56
        .size:           8
        .value_kind:     global_buffer
      - .address_space:  global
        .offset:         64
        .size:           8
        .value_kind:     global_buffer
      - .address_space:  global
        .offset:         72
        .size:           8
        .value_kind:     global_buffer
      - .offset:         80
        .size:           4
        .value_kind:     by_value
      - .address_space:  global
        .offset:         88
        .size:           8
        .value_kind:     global_buffer
      - .address_space:  global
        .offset:         96
        .size:           8
        .value_kind:     global_buffer
    .group_segment_fixed_size: 7616
    .kernarg_segment_align: 8
    .kernarg_segment_size: 104
    .language:       OpenCL C
    .language_version:
      - 2
      - 0
    .max_flat_workgroup_size: 119
    .name:           bluestein_single_fwd_len1904_dim1_half_op_CI_CI
    .private_segment_fixed_size: 132
    .sgpr_count:     44
    .sgpr_spill_count: 0
    .symbol:         bluestein_single_fwd_len1904_dim1_half_op_CI_CI.kd
    .uniform_work_group_size: 1
    .uses_dynamic_stack: false
    .vgpr_count:     256
    .vgpr_spill_count: 32
    .wavefront_size: 64
amdhsa.target:   amdgcn-amd-amdhsa--gfx906
amdhsa.version:
  - 1
  - 2
...

	.end_amdgpu_metadata
